;; amdgpu-corpus repo=ROCm/rocSPARSE kind=compiled arch=gfx90a opt=O3
	.text
	.amdgcn_target "amdgcn-amd-amdhsa--gfx90a"
	.amdhsa_code_object_version 6
	.section	.text._ZN9rocsparseL36csrmmnn_nnz_split_compute_row_limitsILj256ELj256EiiEEvT2_T1_S2_PKS2_PS1_21rocsparse_index_base_,"axG",@progbits,_ZN9rocsparseL36csrmmnn_nnz_split_compute_row_limitsILj256ELj256EiiEEvT2_T1_S2_PKS2_PS1_21rocsparse_index_base_,comdat
	.globl	_ZN9rocsparseL36csrmmnn_nnz_split_compute_row_limitsILj256ELj256EiiEEvT2_T1_S2_PKS2_PS1_21rocsparse_index_base_ ; -- Begin function _ZN9rocsparseL36csrmmnn_nnz_split_compute_row_limitsILj256ELj256EiiEEvT2_T1_S2_PKS2_PS1_21rocsparse_index_base_
	.p2align	8
	.type	_ZN9rocsparseL36csrmmnn_nnz_split_compute_row_limitsILj256ELj256EiiEEvT2_T1_S2_PKS2_PS1_21rocsparse_index_base_,@function
_ZN9rocsparseL36csrmmnn_nnz_split_compute_row_limitsILj256ELj256EiiEEvT2_T1_S2_PKS2_PS1_21rocsparse_index_base_: ; @_ZN9rocsparseL36csrmmnn_nnz_split_compute_row_limitsILj256ELj256EiiEEvT2_T1_S2_PKS2_PS1_21rocsparse_index_base_
; %bb.0:
	s_load_dwordx2 s[12:13], s[4:5], 0x0
	v_lshl_or_b32 v0, s6, 8, v0
	s_waitcnt lgkmcnt(0)
	v_cmp_gt_i32_e32 vcc, s13, v0
	s_and_saveexec_b64 s[0:1], vcc
	s_cbranch_execz .LBB0_7
; %bb.1:
	s_load_dwordx4 s[8:11], s[4:5], 0x10
	s_load_dword s14, s[4:5], 0x20
	v_lshlrev_b32_e32 v1, 8, v0
	v_mov_b32_e32 v2, 0
	s_waitcnt lgkmcnt(0)
	s_load_dword s0, s[8:9], 0x0
	s_waitcnt lgkmcnt(0)
	s_sub_i32 s0, s0, s14
	s_cmp_gt_i32 s12, 1
	v_cmp_lt_i32_e32 vcc, s0, v1
	s_cselect_b64 s[0:1], -1, 0
	s_and_b64 s[0:1], vcc, s[0:1]
	s_and_saveexec_b64 s[4:5], s[0:1]
	s_cbranch_execz .LBB0_5
; %bb.2:
	s_lshr_b32 s0, s12, 1
	v_mov_b32_e32 v5, 0
	s_mov_b64 s[6:7], 0
	v_mov_b32_e32 v4, s0
	v_mov_b32_e32 v6, s12
	v_mov_b32_e32 v7, s9
	v_mov_b32_e32 v2, v5
.LBB0_3:                                ; =>This Inner Loop Header: Depth=1
	v_lshlrev_b64 v[8:9], 2, v[4:5]
	v_add_co_u32_e32 v8, vcc, s8, v8
	v_addc_co_u32_e32 v9, vcc, v7, v9, vcc
	global_load_dword v8, v[8:9], off
	v_mov_b32_e32 v3, v5
	s_waitcnt vmcnt(0)
	v_subrev_u32_e32 v8, s14, v8
	v_cmp_gt_i32_e32 vcc, v8, v1
	v_cndmask_b32_e32 v2, v4, v2, vcc
	v_lshlrev_b64 v[8:9], 2, v[2:3]
	v_add_co_u32_e64 v8, s[0:1], s8, v8
	v_addc_co_u32_e64 v9, s[0:1], v7, v9, s[0:1]
	global_load_dword v3, v[8:9], off
	v_cndmask_b32_e32 v6, v6, v4, vcc
	v_add_u32_e32 v4, v2, v6
	v_lshrrev_b32_e32 v4, 1, v4
	v_cmp_ge_i32_e32 vcc, v2, v4
	v_cmp_le_i32_e64 s[0:1], v6, v4
	s_waitcnt vmcnt(0)
	v_subrev_u32_e32 v3, s14, v3
	v_cmp_ge_i32_e64 s[2:3], v3, v1
	s_or_b64 s[2:3], s[2:3], vcc
	s_or_b64 s[0:1], s[2:3], s[0:1]
	s_and_b64 s[0:1], exec, s[0:1]
	s_or_b64 s[6:7], s[0:1], s[6:7]
	s_andn2_b64 exec, exec, s[6:7]
	s_cbranch_execnz .LBB0_3
; %bb.4:
	s_or_b64 exec, exec, s[6:7]
.LBB0_5:
	s_or_b64 exec, exec, s[4:5]
	v_ashrrev_i32_e32 v1, 31, v0
	v_lshlrev_b64 v[4:5], 2, v[0:1]
	v_mov_b32_e32 v1, s11
	v_add_co_u32_e32 v4, vcc, s10, v4
	v_addc_co_u32_e32 v5, vcc, v1, v5, vcc
	s_add_i32 s0, s13, -1
	v_cmp_eq_u32_e32 vcc, s0, v0
	global_store_dword v[4:5], v2, off
	s_and_b64 exec, exec, vcc
	s_cbranch_execz .LBB0_7
; %bb.6:
	v_mov_b32_e32 v0, s12
	global_store_dword v[4:5], v0, off offset:4
.LBB0_7:
	s_endpgm
	.section	.rodata,"a",@progbits
	.p2align	6, 0x0
	.amdhsa_kernel _ZN9rocsparseL36csrmmnn_nnz_split_compute_row_limitsILj256ELj256EiiEEvT2_T1_S2_PKS2_PS1_21rocsparse_index_base_
		.amdhsa_group_segment_fixed_size 0
		.amdhsa_private_segment_fixed_size 0
		.amdhsa_kernarg_size 36
		.amdhsa_user_sgpr_count 6
		.amdhsa_user_sgpr_private_segment_buffer 1
		.amdhsa_user_sgpr_dispatch_ptr 0
		.amdhsa_user_sgpr_queue_ptr 0
		.amdhsa_user_sgpr_kernarg_segment_ptr 1
		.amdhsa_user_sgpr_dispatch_id 0
		.amdhsa_user_sgpr_flat_scratch_init 0
		.amdhsa_user_sgpr_kernarg_preload_length 0
		.amdhsa_user_sgpr_kernarg_preload_offset 0
		.amdhsa_user_sgpr_private_segment_size 0
		.amdhsa_uses_dynamic_stack 0
		.amdhsa_system_sgpr_private_segment_wavefront_offset 0
		.amdhsa_system_sgpr_workgroup_id_x 1
		.amdhsa_system_sgpr_workgroup_id_y 0
		.amdhsa_system_sgpr_workgroup_id_z 0
		.amdhsa_system_sgpr_workgroup_info 0
		.amdhsa_system_vgpr_workitem_id 0
		.amdhsa_next_free_vgpr 10
		.amdhsa_next_free_sgpr 15
		.amdhsa_accum_offset 12
		.amdhsa_reserve_vcc 1
		.amdhsa_reserve_flat_scratch 0
		.amdhsa_float_round_mode_32 0
		.amdhsa_float_round_mode_16_64 0
		.amdhsa_float_denorm_mode_32 3
		.amdhsa_float_denorm_mode_16_64 3
		.amdhsa_dx10_clamp 1
		.amdhsa_ieee_mode 1
		.amdhsa_fp16_overflow 0
		.amdhsa_tg_split 0
		.amdhsa_exception_fp_ieee_invalid_op 0
		.amdhsa_exception_fp_denorm_src 0
		.amdhsa_exception_fp_ieee_div_zero 0
		.amdhsa_exception_fp_ieee_overflow 0
		.amdhsa_exception_fp_ieee_underflow 0
		.amdhsa_exception_fp_ieee_inexact 0
		.amdhsa_exception_int_div_zero 0
	.end_amdhsa_kernel
	.section	.text._ZN9rocsparseL36csrmmnn_nnz_split_compute_row_limitsILj256ELj256EiiEEvT2_T1_S2_PKS2_PS1_21rocsparse_index_base_,"axG",@progbits,_ZN9rocsparseL36csrmmnn_nnz_split_compute_row_limitsILj256ELj256EiiEEvT2_T1_S2_PKS2_PS1_21rocsparse_index_base_,comdat
.Lfunc_end0:
	.size	_ZN9rocsparseL36csrmmnn_nnz_split_compute_row_limitsILj256ELj256EiiEEvT2_T1_S2_PKS2_PS1_21rocsparse_index_base_, .Lfunc_end0-_ZN9rocsparseL36csrmmnn_nnz_split_compute_row_limitsILj256ELj256EiiEEvT2_T1_S2_PKS2_PS1_21rocsparse_index_base_
                                        ; -- End function
	.section	.AMDGPU.csdata,"",@progbits
; Kernel info:
; codeLenInByte = 340
; NumSgprs: 19
; NumVgprs: 10
; NumAgprs: 0
; TotalNumVgprs: 10
; ScratchSize: 0
; MemoryBound: 0
; FloatMode: 240
; IeeeMode: 1
; LDSByteSize: 0 bytes/workgroup (compile time only)
; SGPRBlocks: 2
; VGPRBlocks: 1
; NumSGPRsForWavesPerEU: 19
; NumVGPRsForWavesPerEU: 10
; AccumOffset: 12
; Occupancy: 8
; WaveLimiterHint : 0
; COMPUTE_PGM_RSRC2:SCRATCH_EN: 0
; COMPUTE_PGM_RSRC2:USER_SGPR: 6
; COMPUTE_PGM_RSRC2:TRAP_HANDLER: 0
; COMPUTE_PGM_RSRC2:TGID_X_EN: 1
; COMPUTE_PGM_RSRC2:TGID_Y_EN: 0
; COMPUTE_PGM_RSRC2:TGID_Z_EN: 0
; COMPUTE_PGM_RSRC2:TIDIG_COMP_CNT: 0
; COMPUTE_PGM_RSRC3_GFX90A:ACCUM_OFFSET: 2
; COMPUTE_PGM_RSRC3_GFX90A:TG_SPLIT: 0
	.section	.text._ZN9rocsparseL36csrmmnn_nnz_split_compute_row_limitsILj256ELj256EliEEvT2_T1_S2_PKS2_PS1_21rocsparse_index_base_,"axG",@progbits,_ZN9rocsparseL36csrmmnn_nnz_split_compute_row_limitsILj256ELj256EliEEvT2_T1_S2_PKS2_PS1_21rocsparse_index_base_,comdat
	.globl	_ZN9rocsparseL36csrmmnn_nnz_split_compute_row_limitsILj256ELj256EliEEvT2_T1_S2_PKS2_PS1_21rocsparse_index_base_ ; -- Begin function _ZN9rocsparseL36csrmmnn_nnz_split_compute_row_limitsILj256ELj256EliEEvT2_T1_S2_PKS2_PS1_21rocsparse_index_base_
	.p2align	8
	.type	_ZN9rocsparseL36csrmmnn_nnz_split_compute_row_limitsILj256ELj256EliEEvT2_T1_S2_PKS2_PS1_21rocsparse_index_base_,@function
_ZN9rocsparseL36csrmmnn_nnz_split_compute_row_limitsILj256ELj256EliEEvT2_T1_S2_PKS2_PS1_21rocsparse_index_base_: ; @_ZN9rocsparseL36csrmmnn_nnz_split_compute_row_limitsILj256ELj256EliEEvT2_T1_S2_PKS2_PS1_21rocsparse_index_base_
; %bb.0:
	s_load_dwordx2 s[12:13], s[4:5], 0x8
	v_mov_b32_e32 v2, 0
	v_lshl_or_b32 v0, s6, 8, v0
	v_mov_b32_e32 v1, v2
	s_waitcnt lgkmcnt(0)
	v_cmp_gt_i64_e32 vcc, s[12:13], v[0:1]
	s_and_saveexec_b64 s[0:1], vcc
	s_cbranch_execz .LBB1_7
; %bb.1:
	s_load_dwordx4 s[8:11], s[4:5], 0x18
	s_load_dword s2, s[4:5], 0x28
	s_load_dword s14, s[4:5], 0x0
	v_lshlrev_b64 v[4:5], 8, v[0:1]
	s_waitcnt lgkmcnt(0)
	s_load_dwordx2 s[0:1], s[8:9], 0x0
	v_add_co_u32_e32 v4, vcc, s2, v4
	v_addc_co_u32_e32 v5, vcc, 0, v5, vcc
	s_cmp_gt_i32 s14, 1
	s_waitcnt lgkmcnt(0)
	v_cmp_lt_i64_e32 vcc, s[0:1], v[4:5]
	s_cselect_b64 s[0:1], -1, 0
	s_and_b64 s[0:1], vcc, s[0:1]
	s_and_saveexec_b64 s[4:5], s[0:1]
	s_cbranch_execz .LBB1_5
; %bb.2:
	s_lshr_b32 s0, s14, 1
	v_mov_b32_e32 v7, 0
	s_mov_b64 s[6:7], 0
	v_mov_b32_e32 v6, s0
	v_mov_b32_e32 v8, s14
	;; [unrolled: 1-line block ×4, first 2 shown]
.LBB1_3:                                ; =>This Inner Loop Header: Depth=1
	v_lshlrev_b64 v[10:11], 3, v[6:7]
	v_add_co_u32_e32 v10, vcc, s8, v10
	v_addc_co_u32_e32 v11, vcc, v9, v11, vcc
	global_load_dwordx2 v[10:11], v[10:11], off
	v_mov_b32_e32 v3, v7
	s_waitcnt vmcnt(0)
	v_cmp_gt_i64_e32 vcc, v[10:11], v[4:5]
	v_cndmask_b32_e32 v2, v6, v2, vcc
	v_lshlrev_b64 v[10:11], 3, v[2:3]
	v_add_co_u32_e64 v10, s[0:1], s8, v10
	v_addc_co_u32_e64 v11, s[0:1], v9, v11, s[0:1]
	global_load_dwordx2 v[10:11], v[10:11], off
	v_cndmask_b32_e32 v8, v8, v6, vcc
	v_add_u32_e32 v3, v2, v8
	v_lshrrev_b32_e32 v6, 1, v3
	v_cmp_ge_i32_e32 vcc, v2, v6
	v_cmp_le_i32_e64 s[0:1], v8, v6
	s_waitcnt vmcnt(0)
	v_cmp_ge_i64_e64 s[2:3], v[10:11], v[4:5]
	s_or_b64 s[2:3], s[2:3], vcc
	s_or_b64 s[0:1], s[2:3], s[0:1]
	s_and_b64 s[0:1], exec, s[0:1]
	s_or_b64 s[6:7], s[0:1], s[6:7]
	s_andn2_b64 exec, exec, s[6:7]
	s_cbranch_execnz .LBB1_3
; %bb.4:
	s_or_b64 exec, exec, s[6:7]
.LBB1_5:
	s_or_b64 exec, exec, s[4:5]
	v_lshlrev_b64 v[4:5], 2, v[0:1]
	v_mov_b32_e32 v3, s11
	v_add_co_u32_e32 v4, vcc, s10, v4
	s_add_u32 s0, s12, -1
	v_addc_co_u32_e32 v5, vcc, v3, v5, vcc
	s_addc_u32 s1, s13, -1
	v_cmp_eq_u64_e32 vcc, s[0:1], v[0:1]
	global_store_dword v[4:5], v2, off
	s_and_b64 exec, exec, vcc
	s_cbranch_execz .LBB1_7
; %bb.6:
	v_mov_b32_e32 v0, s14
	global_store_dword v[4:5], v0, off offset:4
.LBB1_7:
	s_endpgm
	.section	.rodata,"a",@progbits
	.p2align	6, 0x0
	.amdhsa_kernel _ZN9rocsparseL36csrmmnn_nnz_split_compute_row_limitsILj256ELj256EliEEvT2_T1_S2_PKS2_PS1_21rocsparse_index_base_
		.amdhsa_group_segment_fixed_size 0
		.amdhsa_private_segment_fixed_size 0
		.amdhsa_kernarg_size 44
		.amdhsa_user_sgpr_count 6
		.amdhsa_user_sgpr_private_segment_buffer 1
		.amdhsa_user_sgpr_dispatch_ptr 0
		.amdhsa_user_sgpr_queue_ptr 0
		.amdhsa_user_sgpr_kernarg_segment_ptr 1
		.amdhsa_user_sgpr_dispatch_id 0
		.amdhsa_user_sgpr_flat_scratch_init 0
		.amdhsa_user_sgpr_kernarg_preload_length 0
		.amdhsa_user_sgpr_kernarg_preload_offset 0
		.amdhsa_user_sgpr_private_segment_size 0
		.amdhsa_uses_dynamic_stack 0
		.amdhsa_system_sgpr_private_segment_wavefront_offset 0
		.amdhsa_system_sgpr_workgroup_id_x 1
		.amdhsa_system_sgpr_workgroup_id_y 0
		.amdhsa_system_sgpr_workgroup_id_z 0
		.amdhsa_system_sgpr_workgroup_info 0
		.amdhsa_system_vgpr_workitem_id 0
		.amdhsa_next_free_vgpr 12
		.amdhsa_next_free_sgpr 15
		.amdhsa_accum_offset 12
		.amdhsa_reserve_vcc 1
		.amdhsa_reserve_flat_scratch 0
		.amdhsa_float_round_mode_32 0
		.amdhsa_float_round_mode_16_64 0
		.amdhsa_float_denorm_mode_32 3
		.amdhsa_float_denorm_mode_16_64 3
		.amdhsa_dx10_clamp 1
		.amdhsa_ieee_mode 1
		.amdhsa_fp16_overflow 0
		.amdhsa_tg_split 0
		.amdhsa_exception_fp_ieee_invalid_op 0
		.amdhsa_exception_fp_denorm_src 0
		.amdhsa_exception_fp_ieee_div_zero 0
		.amdhsa_exception_fp_ieee_overflow 0
		.amdhsa_exception_fp_ieee_underflow 0
		.amdhsa_exception_fp_ieee_inexact 0
		.amdhsa_exception_int_div_zero 0
	.end_amdhsa_kernel
	.section	.text._ZN9rocsparseL36csrmmnn_nnz_split_compute_row_limitsILj256ELj256EliEEvT2_T1_S2_PKS2_PS1_21rocsparse_index_base_,"axG",@progbits,_ZN9rocsparseL36csrmmnn_nnz_split_compute_row_limitsILj256ELj256EliEEvT2_T1_S2_PKS2_PS1_21rocsparse_index_base_,comdat
.Lfunc_end1:
	.size	_ZN9rocsparseL36csrmmnn_nnz_split_compute_row_limitsILj256ELj256EliEEvT2_T1_S2_PKS2_PS1_21rocsparse_index_base_, .Lfunc_end1-_ZN9rocsparseL36csrmmnn_nnz_split_compute_row_limitsILj256ELj256EliEEvT2_T1_S2_PKS2_PS1_21rocsparse_index_base_
                                        ; -- End function
	.section	.AMDGPU.csdata,"",@progbits
; Kernel info:
; codeLenInByte = 352
; NumSgprs: 19
; NumVgprs: 12
; NumAgprs: 0
; TotalNumVgprs: 12
; ScratchSize: 0
; MemoryBound: 0
; FloatMode: 240
; IeeeMode: 1
; LDSByteSize: 0 bytes/workgroup (compile time only)
; SGPRBlocks: 2
; VGPRBlocks: 1
; NumSGPRsForWavesPerEU: 19
; NumVGPRsForWavesPerEU: 12
; AccumOffset: 12
; Occupancy: 8
; WaveLimiterHint : 0
; COMPUTE_PGM_RSRC2:SCRATCH_EN: 0
; COMPUTE_PGM_RSRC2:USER_SGPR: 6
; COMPUTE_PGM_RSRC2:TRAP_HANDLER: 0
; COMPUTE_PGM_RSRC2:TGID_X_EN: 1
; COMPUTE_PGM_RSRC2:TGID_Y_EN: 0
; COMPUTE_PGM_RSRC2:TGID_Z_EN: 0
; COMPUTE_PGM_RSRC2:TIDIG_COMP_CNT: 0
; COMPUTE_PGM_RSRC3_GFX90A:ACCUM_OFFSET: 2
; COMPUTE_PGM_RSRC3_GFX90A:TG_SPLIT: 0
	.section	.text._ZN9rocsparseL36csrmmnn_nnz_split_compute_row_limitsILj256ELj256EllEEvT2_T1_S2_PKS2_PS1_21rocsparse_index_base_,"axG",@progbits,_ZN9rocsparseL36csrmmnn_nnz_split_compute_row_limitsILj256ELj256EllEEvT2_T1_S2_PKS2_PS1_21rocsparse_index_base_,comdat
	.globl	_ZN9rocsparseL36csrmmnn_nnz_split_compute_row_limitsILj256ELj256EllEEvT2_T1_S2_PKS2_PS1_21rocsparse_index_base_ ; -- Begin function _ZN9rocsparseL36csrmmnn_nnz_split_compute_row_limitsILj256ELj256EllEEvT2_T1_S2_PKS2_PS1_21rocsparse_index_base_
	.p2align	8
	.type	_ZN9rocsparseL36csrmmnn_nnz_split_compute_row_limitsILj256ELj256EllEEvT2_T1_S2_PKS2_PS1_21rocsparse_index_base_,@function
_ZN9rocsparseL36csrmmnn_nnz_split_compute_row_limitsILj256ELj256EllEEvT2_T1_S2_PKS2_PS1_21rocsparse_index_base_: ; @_ZN9rocsparseL36csrmmnn_nnz_split_compute_row_limitsILj256ELj256EllEEvT2_T1_S2_PKS2_PS1_21rocsparse_index_base_
; %bb.0:
	s_load_dwordx4 s[8:11], s[4:5], 0x0
	v_lshl_or_b32 v0, s6, 8, v0
	v_mov_b32_e32 v1, 0
	s_waitcnt lgkmcnt(0)
	v_cmp_gt_i64_e32 vcc, s[10:11], v[0:1]
	s_and_saveexec_b64 s[0:1], vcc
	s_cbranch_execz .LBB2_7
; %bb.1:
	s_load_dwordx4 s[12:15], s[4:5], 0x18
	s_load_dword s6, s[4:5], 0x28
	v_lshlrev_b64 v[2:3], 8, v[0:1]
	v_cmp_gt_i64_e64 s[0:1], s[8:9], 1
	s_waitcnt lgkmcnt(0)
	s_load_dwordx2 s[2:3], s[12:13], 0x0
	v_add_co_u32_e32 v4, vcc, s6, v2
	v_addc_co_u32_e32 v5, vcc, 0, v3, vcc
	s_waitcnt lgkmcnt(0)
	v_cmp_lt_i64_e32 vcc, s[2:3], v[4:5]
	s_and_b64 s[0:1], vcc, s[0:1]
	v_pk_mov_b32 v[2:3], 0, 0
	s_and_saveexec_b64 s[4:5], s[0:1]
	s_cbranch_execz .LBB2_5
; %bb.2:
	s_lshr_b64 s[0:1], s[8:9], 1
	s_mov_b64 s[6:7], 0
	v_pk_mov_b32 v[8:9], s[0:1], s[0:1] op_sel:[0,1]
	v_pk_mov_b32 v[6:7], s[8:9], s[8:9] op_sel:[0,1]
	v_pk_mov_b32 v[2:3], 0, 0
	v_mov_b32_e32 v10, s13
.LBB2_3:                                ; =>This Inner Loop Header: Depth=1
	v_lshlrev_b64 v[12:13], 3, v[8:9]
	v_add_co_u32_e32 v12, vcc, s12, v12
	v_addc_co_u32_e32 v13, vcc, v10, v13, vcc
	global_load_dwordx2 v[12:13], v[12:13], off
	s_waitcnt vmcnt(0)
	v_cmp_gt_i64_e32 vcc, v[12:13], v[4:5]
	v_cndmask_b32_e32 v3, v9, v3, vcc
	v_cndmask_b32_e32 v2, v8, v2, vcc
	v_lshlrev_b64 v[12:13], 3, v[2:3]
	v_add_co_u32_e64 v12, s[0:1], s12, v12
	v_addc_co_u32_e64 v13, s[0:1], v10, v13, s[0:1]
	global_load_dwordx2 v[12:13], v[12:13], off
	v_cndmask_b32_e32 v6, v6, v8, vcc
	v_cndmask_b32_e32 v7, v7, v9, vcc
	v_add_co_u32_e32 v8, vcc, v2, v6
	v_addc_co_u32_e32 v9, vcc, v3, v7, vcc
	v_lshrrev_b64 v[8:9], 1, v[8:9]
	v_cmp_ge_i64_e32 vcc, v[2:3], v[8:9]
	v_cmp_le_i64_e64 s[0:1], v[6:7], v[8:9]
	s_waitcnt vmcnt(0)
	v_cmp_ge_i64_e64 s[2:3], v[12:13], v[4:5]
	s_or_b64 s[2:3], s[2:3], vcc
	s_or_b64 s[0:1], s[2:3], s[0:1]
	s_and_b64 s[0:1], exec, s[0:1]
	s_or_b64 s[6:7], s[0:1], s[6:7]
	s_andn2_b64 exec, exec, s[6:7]
	s_cbranch_execnz .LBB2_3
; %bb.4:
	s_or_b64 exec, exec, s[6:7]
.LBB2_5:
	s_or_b64 exec, exec, s[4:5]
	v_lshlrev_b64 v[4:5], 3, v[0:1]
	v_mov_b32_e32 v6, s15
	v_add_co_u32_e32 v4, vcc, s14, v4
	s_add_u32 s0, s10, -1
	v_addc_co_u32_e32 v5, vcc, v6, v5, vcc
	s_addc_u32 s1, s11, -1
	v_cmp_eq_u64_e32 vcc, s[0:1], v[0:1]
	global_store_dwordx2 v[4:5], v[2:3], off
	s_and_b64 exec, exec, vcc
	s_cbranch_execz .LBB2_7
; %bb.6:
	v_pk_mov_b32 v[0:1], s[8:9], s[8:9] op_sel:[0,1]
	global_store_dwordx2 v[4:5], v[0:1], off offset:8
.LBB2_7:
	s_endpgm
	.section	.rodata,"a",@progbits
	.p2align	6, 0x0
	.amdhsa_kernel _ZN9rocsparseL36csrmmnn_nnz_split_compute_row_limitsILj256ELj256EllEEvT2_T1_S2_PKS2_PS1_21rocsparse_index_base_
		.amdhsa_group_segment_fixed_size 0
		.amdhsa_private_segment_fixed_size 0
		.amdhsa_kernarg_size 44
		.amdhsa_user_sgpr_count 6
		.amdhsa_user_sgpr_private_segment_buffer 1
		.amdhsa_user_sgpr_dispatch_ptr 0
		.amdhsa_user_sgpr_queue_ptr 0
		.amdhsa_user_sgpr_kernarg_segment_ptr 1
		.amdhsa_user_sgpr_dispatch_id 0
		.amdhsa_user_sgpr_flat_scratch_init 0
		.amdhsa_user_sgpr_kernarg_preload_length 0
		.amdhsa_user_sgpr_kernarg_preload_offset 0
		.amdhsa_user_sgpr_private_segment_size 0
		.amdhsa_uses_dynamic_stack 0
		.amdhsa_system_sgpr_private_segment_wavefront_offset 0
		.amdhsa_system_sgpr_workgroup_id_x 1
		.amdhsa_system_sgpr_workgroup_id_y 0
		.amdhsa_system_sgpr_workgroup_id_z 0
		.amdhsa_system_sgpr_workgroup_info 0
		.amdhsa_system_vgpr_workitem_id 0
		.amdhsa_next_free_vgpr 14
		.amdhsa_next_free_sgpr 16
		.amdhsa_accum_offset 16
		.amdhsa_reserve_vcc 1
		.amdhsa_reserve_flat_scratch 0
		.amdhsa_float_round_mode_32 0
		.amdhsa_float_round_mode_16_64 0
		.amdhsa_float_denorm_mode_32 3
		.amdhsa_float_denorm_mode_16_64 3
		.amdhsa_dx10_clamp 1
		.amdhsa_ieee_mode 1
		.amdhsa_fp16_overflow 0
		.amdhsa_tg_split 0
		.amdhsa_exception_fp_ieee_invalid_op 0
		.amdhsa_exception_fp_denorm_src 0
		.amdhsa_exception_fp_ieee_div_zero 0
		.amdhsa_exception_fp_ieee_overflow 0
		.amdhsa_exception_fp_ieee_underflow 0
		.amdhsa_exception_fp_ieee_inexact 0
		.amdhsa_exception_int_div_zero 0
	.end_amdhsa_kernel
	.section	.text._ZN9rocsparseL36csrmmnn_nnz_split_compute_row_limitsILj256ELj256EllEEvT2_T1_S2_PKS2_PS1_21rocsparse_index_base_,"axG",@progbits,_ZN9rocsparseL36csrmmnn_nnz_split_compute_row_limitsILj256ELj256EllEEvT2_T1_S2_PKS2_PS1_21rocsparse_index_base_,comdat
.Lfunc_end2:
	.size	_ZN9rocsparseL36csrmmnn_nnz_split_compute_row_limitsILj256ELj256EllEEvT2_T1_S2_PKS2_PS1_21rocsparse_index_base_, .Lfunc_end2-_ZN9rocsparseL36csrmmnn_nnz_split_compute_row_limitsILj256ELj256EllEEvT2_T1_S2_PKS2_PS1_21rocsparse_index_base_
                                        ; -- End function
	.section	.AMDGPU.csdata,"",@progbits
; Kernel info:
; codeLenInByte = 372
; NumSgprs: 20
; NumVgprs: 14
; NumAgprs: 0
; TotalNumVgprs: 14
; ScratchSize: 0
; MemoryBound: 0
; FloatMode: 240
; IeeeMode: 1
; LDSByteSize: 0 bytes/workgroup (compile time only)
; SGPRBlocks: 2
; VGPRBlocks: 1
; NumSGPRsForWavesPerEU: 20
; NumVGPRsForWavesPerEU: 14
; AccumOffset: 16
; Occupancy: 8
; WaveLimiterHint : 0
; COMPUTE_PGM_RSRC2:SCRATCH_EN: 0
; COMPUTE_PGM_RSRC2:USER_SGPR: 6
; COMPUTE_PGM_RSRC2:TRAP_HANDLER: 0
; COMPUTE_PGM_RSRC2:TGID_X_EN: 1
; COMPUTE_PGM_RSRC2:TGID_Y_EN: 0
; COMPUTE_PGM_RSRC2:TGID_Z_EN: 0
; COMPUTE_PGM_RSRC2:TIDIG_COMP_CNT: 0
; COMPUTE_PGM_RSRC3_GFX90A:ACCUM_OFFSET: 3
; COMPUTE_PGM_RSRC3_GFX90A:TG_SPLIT: 0
	.section	.text._ZN9rocsparseL28csrmmnn_general_block_reduceILj1024EiiffEEvT0_PKT1_PKT3_PT2_l16rocsparse_order_,"axG",@progbits,_ZN9rocsparseL28csrmmnn_general_block_reduceILj1024EiiffEEvT0_PKT1_PKT3_PT2_l16rocsparse_order_,comdat
	.globl	_ZN9rocsparseL28csrmmnn_general_block_reduceILj1024EiiffEEvT0_PKT1_PKT3_PT2_l16rocsparse_order_ ; -- Begin function _ZN9rocsparseL28csrmmnn_general_block_reduceILj1024EiiffEEvT0_PKT1_PKT3_PT2_l16rocsparse_order_
	.p2align	8
	.type	_ZN9rocsparseL28csrmmnn_general_block_reduceILj1024EiiffEEvT0_PKT1_PKT3_PT2_l16rocsparse_order_,@function
_ZN9rocsparseL28csrmmnn_general_block_reduceILj1024EiiffEEvT0_PKT1_PKT3_PT2_l16rocsparse_order_: ; @_ZN9rocsparseL28csrmmnn_general_block_reduceILj1024EiiffEEvT0_PKT1_PKT3_PT2_l16rocsparse_order_
; %bb.0:
	s_load_dword s33, s[4:5], 0x0
	v_lshlrev_b32_e32 v6, 2, v0
	v_mov_b32_e32 v1, -1
	v_mov_b32_e32 v3, 0
	ds_write2st64_b32 v6, v1, v3 offset1:16
	s_waitcnt lgkmcnt(0)
	v_cmp_gt_i32_e32 vcc, s33, v0
	s_barrier
	s_and_saveexec_b64 s[0:1], vcc
	s_cbranch_execz .LBB3_51
; %bb.1:
	s_load_dword s7, s[4:5], 0x28
	s_load_dwordx8 s[24:31], s[4:5], 0x8
	s_mul_i32 s38, s6, s33
	v_or_b32_e32 v7, 0x1000, v6
	s_movk_i32 s14, 0x7f
	s_waitcnt lgkmcnt(0)
	s_cmp_lg_u32 s7, 1
	s_cselect_b64 s[34:35], -1, 0
	s_ashr_i32 s7, s6, 31
	s_lshl_b64 s[36:37], s[6:7], 2
	s_add_u32 s39, s28, s36
	s_addc_u32 s40, s29, s37
	s_mul_i32 s36, s6, s31
	s_mul_hi_u32 s37, s6, s30
	s_add_i32 s36, s37, s36
	s_mul_i32 s7, s7, s30
	s_add_i32 s7, s36, s7
	s_mul_i32 s6, s6, s30
	s_lshl_b64 s[6:7], s[6:7], 2
	s_movk_i32 s16, 0xff
	s_movk_i32 s18, 0x1ff
	;; [unrolled: 1-line block ×3, first 2 shown]
	s_add_u32 s41, s28, s6
	v_cmp_ne_u32_e64 s[0:1], 0, v0
	v_add_u32_e32 v8, -4, v6
	v_add_u32_e32 v9, -4, v7
	v_cmp_lt_u32_e64 s[2:3], 1, v0
	v_add_u32_e32 v10, -8, v6
	v_add_u32_e32 v11, -8, v7
	v_cmp_lt_u32_e64 s[4:5], 3, v0
	;; [unrolled: 3-line block ×3, first 2 shown]
	v_subrev_u32_e32 v14, 32, v6
	v_subrev_u32_e32 v15, 32, v7
	v_cmp_lt_u32_e64 s[8:9], 15, v0
	v_subrev_u32_e32 v16, 64, v6
	v_subrev_u32_e32 v17, 64, v7
	v_cmp_lt_u32_e64 s[10:11], 31, v0
	v_add_u32_e32 v18, 0xffffff80, v6
	v_add_u32_e32 v19, 0xffffff80, v7
	v_cmp_lt_u32_e64 s[12:13], 63, v0
	v_add_u32_e32 v20, 0xffffff00, v6
	v_add_u32_e32 v21, 0xffffff00, v7
	;; [unrolled: 3-line block ×5, first 2 shown]
	v_cmp_ne_u32_e64 s[20:21], s20, v0
	s_addc_u32 s42, s29, s7
	s_mov_b64 s[28:29], 0
	v_mov_b32_e32 v28, s25
	v_mov_b32_e32 v29, s27
	s_branch .LBB3_4
.LBB3_2:                                ;   in Loop: Header=BB3_4 Depth=1
	global_load_dword v1, v[4:5], off
	ds_read_b32 v2, v7
	s_waitcnt vmcnt(0) lgkmcnt(0)
	v_add_f32_e32 v1, v1, v2
	global_store_dword v[4:5], v1, off
.LBB3_3:                                ;   in Loop: Header=BB3_4 Depth=1
	s_or_b64 exec, exec, s[6:7]
	v_add_u32_e32 v0, 0x400, v0
	v_cmp_le_i32_e32 vcc, s33, v0
	s_or_b64 s[28:29], vcc, s[28:29]
	s_barrier
	s_andn2_b64 exec, exec, s[28:29]
	s_cbranch_execz .LBB3_51
.LBB3_4:                                ; =>This Inner Loop Header: Depth=1
	v_ashrrev_i32_e32 v1, 31, v0
	v_lshlrev_b64 v[4:5], 2, v[0:1]
	v_add_co_u32_e32 v4, vcc, s24, v4
	v_addc_co_u32_e32 v5, vcc, v28, v5, vcc
	global_load_dword v2, v[4:5], off
	v_add_u32_e32 v4, s38, v0
	v_ashrrev_i32_e32 v5, 31, v4
	v_lshlrev_b64 v[4:5], 2, v[4:5]
	v_add_co_u32_e32 v4, vcc, s26, v4
	v_addc_co_u32_e32 v5, vcc, v29, v5, vcc
	global_load_dword v4, v[4:5], off
	v_mov_b32_e32 v1, 0
	s_waitcnt vmcnt(1)
	ds_write_b32 v6, v2
	s_waitcnt vmcnt(0)
	ds_write_b32 v7, v4
	v_mov_b32_e32 v2, 0
	s_waitcnt lgkmcnt(0)
	s_barrier
	s_and_saveexec_b64 s[6:7], s[0:1]
	s_cbranch_execz .LBB3_8
; %bb.5:                                ;   in Loop: Header=BB3_4 Depth=1
	ds_read2_b32 v[4:5], v8 offset1:1
	v_mov_b32_e32 v2, 0
	s_waitcnt lgkmcnt(0)
	v_cmp_eq_u32_e32 vcc, v5, v4
	s_and_saveexec_b64 s[36:37], vcc
	s_cbranch_execz .LBB3_7
; %bb.6:                                ;   in Loop: Header=BB3_4 Depth=1
	ds_read_b32 v2, v9
.LBB3_7:                                ;   in Loop: Header=BB3_4 Depth=1
	s_or_b64 exec, exec, s[36:37]
.LBB3_8:                                ;   in Loop: Header=BB3_4 Depth=1
	s_or_b64 exec, exec, s[6:7]
	s_waitcnt lgkmcnt(0)
	s_barrier
	ds_read_b32 v4, v7
	s_waitcnt lgkmcnt(0)
	v_add_f32_e32 v2, v2, v4
	ds_write_b32 v7, v2
	s_waitcnt lgkmcnt(0)
	s_barrier
	s_and_saveexec_b64 s[6:7], s[2:3]
	s_cbranch_execz .LBB3_12
; %bb.9:                                ;   in Loop: Header=BB3_4 Depth=1
	ds_read_b32 v1, v6
	ds_read_b32 v2, v10
	s_waitcnt lgkmcnt(0)
	v_cmp_eq_u32_e32 vcc, v1, v2
	v_mov_b32_e32 v1, 0
	s_and_saveexec_b64 s[36:37], vcc
	s_cbranch_execz .LBB3_11
; %bb.10:                               ;   in Loop: Header=BB3_4 Depth=1
	ds_read_b32 v1, v11
.LBB3_11:                               ;   in Loop: Header=BB3_4 Depth=1
	s_or_b64 exec, exec, s[36:37]
.LBB3_12:                               ;   in Loop: Header=BB3_4 Depth=1
	s_or_b64 exec, exec, s[6:7]
	s_waitcnt lgkmcnt(0)
	s_barrier
	ds_read_b32 v2, v7
	s_waitcnt lgkmcnt(0)
	v_add_f32_e32 v1, v1, v2
	ds_write_b32 v7, v1
	v_mov_b32_e32 v1, 0
	v_mov_b32_e32 v2, 0
	s_waitcnt lgkmcnt(0)
	s_barrier
	s_and_saveexec_b64 s[6:7], s[4:5]
	s_cbranch_execz .LBB3_16
; %bb.13:                               ;   in Loop: Header=BB3_4 Depth=1
	ds_read_b32 v2, v6
	ds_read_b32 v4, v12
	s_waitcnt lgkmcnt(0)
	v_cmp_eq_u32_e32 vcc, v2, v4
	v_mov_b32_e32 v2, 0
	s_and_saveexec_b64 s[36:37], vcc
	s_cbranch_execz .LBB3_15
; %bb.14:                               ;   in Loop: Header=BB3_4 Depth=1
	ds_read_b32 v2, v13
.LBB3_15:                               ;   in Loop: Header=BB3_4 Depth=1
	s_or_b64 exec, exec, s[36:37]
.LBB3_16:                               ;   in Loop: Header=BB3_4 Depth=1
	s_or_b64 exec, exec, s[6:7]
	s_waitcnt lgkmcnt(0)
	s_barrier
	ds_read_b32 v4, v7
	s_waitcnt lgkmcnt(0)
	v_add_f32_e32 v2, v2, v4
	ds_write_b32 v7, v2
	s_waitcnt lgkmcnt(0)
	s_barrier
	s_and_saveexec_b64 s[6:7], s[22:23]
	s_cbranch_execz .LBB3_20
; %bb.17:                               ;   in Loop: Header=BB3_4 Depth=1
	ds_read_b32 v1, v6
	ds_read_b32 v2, v14
	s_waitcnt lgkmcnt(0)
	v_cmp_eq_u32_e32 vcc, v1, v2
	v_mov_b32_e32 v1, 0
	s_and_saveexec_b64 s[36:37], vcc
	s_cbranch_execz .LBB3_19
; %bb.18:                               ;   in Loop: Header=BB3_4 Depth=1
	ds_read_b32 v1, v15
.LBB3_19:                               ;   in Loop: Header=BB3_4 Depth=1
	s_or_b64 exec, exec, s[36:37]
.LBB3_20:                               ;   in Loop: Header=BB3_4 Depth=1
	s_or_b64 exec, exec, s[6:7]
	s_waitcnt lgkmcnt(0)
	s_barrier
	ds_read_b32 v2, v7
	s_waitcnt lgkmcnt(0)
	v_add_f32_e32 v1, v1, v2
	ds_write_b32 v7, v1
	v_mov_b32_e32 v1, 0
	v_mov_b32_e32 v2, 0
	s_waitcnt lgkmcnt(0)
	s_barrier
	s_and_saveexec_b64 s[6:7], s[8:9]
	s_cbranch_execz .LBB3_24
; %bb.21:                               ;   in Loop: Header=BB3_4 Depth=1
	ds_read_b32 v2, v6
	ds_read_b32 v4, v16
	s_waitcnt lgkmcnt(0)
	v_cmp_eq_u32_e32 vcc, v2, v4
	v_mov_b32_e32 v2, 0
	s_and_saveexec_b64 s[36:37], vcc
	s_cbranch_execz .LBB3_23
; %bb.22:                               ;   in Loop: Header=BB3_4 Depth=1
	ds_read_b32 v2, v17
.LBB3_23:                               ;   in Loop: Header=BB3_4 Depth=1
	s_or_b64 exec, exec, s[36:37]
.LBB3_24:                               ;   in Loop: Header=BB3_4 Depth=1
	s_or_b64 exec, exec, s[6:7]
	s_waitcnt lgkmcnt(0)
	s_barrier
	ds_read_b32 v4, v7
	s_waitcnt lgkmcnt(0)
	v_add_f32_e32 v2, v2, v4
	ds_write_b32 v7, v2
	s_waitcnt lgkmcnt(0)
	s_barrier
	s_and_saveexec_b64 s[6:7], s[10:11]
	s_cbranch_execz .LBB3_28
; %bb.25:                               ;   in Loop: Header=BB3_4 Depth=1
	ds_read_b32 v1, v6
	ds_read_b32 v2, v18
	s_waitcnt lgkmcnt(0)
	v_cmp_eq_u32_e32 vcc, v1, v2
	v_mov_b32_e32 v1, 0
	s_and_saveexec_b64 s[36:37], vcc
	s_cbranch_execz .LBB3_27
; %bb.26:                               ;   in Loop: Header=BB3_4 Depth=1
	ds_read_b32 v1, v19
.LBB3_27:                               ;   in Loop: Header=BB3_4 Depth=1
	s_or_b64 exec, exec, s[36:37]
.LBB3_28:                               ;   in Loop: Header=BB3_4 Depth=1
	;; [unrolled: 50-line block ×4, first 2 shown]
	s_or_b64 exec, exec, s[6:7]
	s_waitcnt lgkmcnt(0)
	s_barrier
	ds_read_b32 v2, v7
	s_waitcnt lgkmcnt(0)
	v_add_f32_e32 v1, v1, v2
	ds_write_b32 v7, v1
	s_waitcnt lgkmcnt(0)
	s_barrier
	ds_read_b32 v2, v6
	v_mov_b32_e32 v1, -1
	s_and_saveexec_b64 s[6:7], s[20:21]
	s_cbranch_execz .LBB3_46
; %bb.45:                               ;   in Loop: Header=BB3_4 Depth=1
	ds_read_b32 v1, v6 offset:4
.LBB3_46:                               ;   in Loop: Header=BB3_4 Depth=1
	s_or_b64 exec, exec, s[6:7]
	s_waitcnt lgkmcnt(0)
	v_cmp_ne_u32_e32 vcc, v2, v1
	v_cmp_lt_i32_e64 s[6:7], -1, v2
	s_and_b64 s[36:37], s[6:7], vcc
	s_and_saveexec_b64 s[6:7], s[36:37]
	s_cbranch_execz .LBB3_3
; %bb.47:                               ;   in Loop: Header=BB3_4 Depth=1
	s_and_b64 vcc, exec, s[34:35]
	s_cbranch_vccz .LBB3_49
; %bb.48:                               ;   in Loop: Header=BB3_4 Depth=1
	v_mad_u64_u32 v[4:5], s[36:37], v2, s30, 0
	v_mov_b32_e32 v30, v5
	v_mad_u64_u32 v[30:31], s[36:37], v2, s31, v[30:31]
	v_mov_b32_e32 v5, v30
	v_lshlrev_b64 v[4:5], 2, v[4:5]
	v_mov_b32_e32 v1, s40
	v_add_co_u32_e32 v4, vcc, s39, v4
	v_addc_co_u32_e32 v5, vcc, v1, v5, vcc
	s_cbranch_execnz .LBB3_2
	s_branch .LBB3_50
.LBB3_49:                               ;   in Loop: Header=BB3_4 Depth=1
                                        ; implicit-def: $vgpr4_vgpr5
.LBB3_50:                               ;   in Loop: Header=BB3_4 Depth=1
	v_lshlrev_b64 v[4:5], 2, v[2:3]
	v_mov_b32_e32 v1, s42
	v_add_co_u32_e32 v4, vcc, s41, v4
	v_addc_co_u32_e32 v5, vcc, v1, v5, vcc
	s_branch .LBB3_2
.LBB3_51:
	s_endpgm
	.section	.rodata,"a",@progbits
	.p2align	6, 0x0
	.amdhsa_kernel _ZN9rocsparseL28csrmmnn_general_block_reduceILj1024EiiffEEvT0_PKT1_PKT3_PT2_l16rocsparse_order_
		.amdhsa_group_segment_fixed_size 8192
		.amdhsa_private_segment_fixed_size 0
		.amdhsa_kernarg_size 44
		.amdhsa_user_sgpr_count 6
		.amdhsa_user_sgpr_private_segment_buffer 1
		.amdhsa_user_sgpr_dispatch_ptr 0
		.amdhsa_user_sgpr_queue_ptr 0
		.amdhsa_user_sgpr_kernarg_segment_ptr 1
		.amdhsa_user_sgpr_dispatch_id 0
		.amdhsa_user_sgpr_flat_scratch_init 0
		.amdhsa_user_sgpr_kernarg_preload_length 0
		.amdhsa_user_sgpr_kernarg_preload_offset 0
		.amdhsa_user_sgpr_private_segment_size 0
		.amdhsa_uses_dynamic_stack 0
		.amdhsa_system_sgpr_private_segment_wavefront_offset 0
		.amdhsa_system_sgpr_workgroup_id_x 1
		.amdhsa_system_sgpr_workgroup_id_y 0
		.amdhsa_system_sgpr_workgroup_id_z 0
		.amdhsa_system_sgpr_workgroup_info 0
		.amdhsa_system_vgpr_workitem_id 0
		.amdhsa_next_free_vgpr 32
		.amdhsa_next_free_sgpr 43
		.amdhsa_accum_offset 32
		.amdhsa_reserve_vcc 1
		.amdhsa_reserve_flat_scratch 0
		.amdhsa_float_round_mode_32 0
		.amdhsa_float_round_mode_16_64 0
		.amdhsa_float_denorm_mode_32 3
		.amdhsa_float_denorm_mode_16_64 3
		.amdhsa_dx10_clamp 1
		.amdhsa_ieee_mode 1
		.amdhsa_fp16_overflow 0
		.amdhsa_tg_split 0
		.amdhsa_exception_fp_ieee_invalid_op 0
		.amdhsa_exception_fp_denorm_src 0
		.amdhsa_exception_fp_ieee_div_zero 0
		.amdhsa_exception_fp_ieee_overflow 0
		.amdhsa_exception_fp_ieee_underflow 0
		.amdhsa_exception_fp_ieee_inexact 0
		.amdhsa_exception_int_div_zero 0
	.end_amdhsa_kernel
	.section	.text._ZN9rocsparseL28csrmmnn_general_block_reduceILj1024EiiffEEvT0_PKT1_PKT3_PT2_l16rocsparse_order_,"axG",@progbits,_ZN9rocsparseL28csrmmnn_general_block_reduceILj1024EiiffEEvT0_PKT1_PKT3_PT2_l16rocsparse_order_,comdat
.Lfunc_end3:
	.size	_ZN9rocsparseL28csrmmnn_general_block_reduceILj1024EiiffEEvT0_PKT1_PKT3_PT2_l16rocsparse_order_, .Lfunc_end3-_ZN9rocsparseL28csrmmnn_general_block_reduceILj1024EiiffEEvT0_PKT1_PKT3_PT2_l16rocsparse_order_
                                        ; -- End function
	.section	.AMDGPU.csdata,"",@progbits
; Kernel info:
; codeLenInByte = 1716
; NumSgprs: 47
; NumVgprs: 32
; NumAgprs: 0
; TotalNumVgprs: 32
; ScratchSize: 0
; MemoryBound: 0
; FloatMode: 240
; IeeeMode: 1
; LDSByteSize: 8192 bytes/workgroup (compile time only)
; SGPRBlocks: 5
; VGPRBlocks: 3
; NumSGPRsForWavesPerEU: 47
; NumVGPRsForWavesPerEU: 32
; AccumOffset: 32
; Occupancy: 8
; WaveLimiterHint : 0
; COMPUTE_PGM_RSRC2:SCRATCH_EN: 0
; COMPUTE_PGM_RSRC2:USER_SGPR: 6
; COMPUTE_PGM_RSRC2:TRAP_HANDLER: 0
; COMPUTE_PGM_RSRC2:TGID_X_EN: 1
; COMPUTE_PGM_RSRC2:TGID_Y_EN: 0
; COMPUTE_PGM_RSRC2:TGID_Z_EN: 0
; COMPUTE_PGM_RSRC2:TIDIG_COMP_CNT: 0
; COMPUTE_PGM_RSRC3_GFX90A:ACCUM_OFFSET: 7
; COMPUTE_PGM_RSRC3_GFX90A:TG_SPLIT: 0
	.section	.text._ZN9rocsparseL28csrmmnn_general_block_reduceILj1024EliffEEvT0_PKT1_PKT3_PT2_l16rocsparse_order_,"axG",@progbits,_ZN9rocsparseL28csrmmnn_general_block_reduceILj1024EliffEEvT0_PKT1_PKT3_PT2_l16rocsparse_order_,comdat
	.globl	_ZN9rocsparseL28csrmmnn_general_block_reduceILj1024EliffEEvT0_PKT1_PKT3_PT2_l16rocsparse_order_ ; -- Begin function _ZN9rocsparseL28csrmmnn_general_block_reduceILj1024EliffEEvT0_PKT1_PKT3_PT2_l16rocsparse_order_
	.p2align	8
	.type	_ZN9rocsparseL28csrmmnn_general_block_reduceILj1024EliffEEvT0_PKT1_PKT3_PT2_l16rocsparse_order_,@function
_ZN9rocsparseL28csrmmnn_general_block_reduceILj1024EliffEEvT0_PKT1_PKT3_PT2_l16rocsparse_order_: ; @_ZN9rocsparseL28csrmmnn_general_block_reduceILj1024EliffEEvT0_PKT1_PKT3_PT2_l16rocsparse_order_
; %bb.0:
	s_load_dwordx2 s[34:35], s[4:5], 0x0
	v_mov_b32_e32 v2, -1
	v_mov_b32_e32 v1, 0
	v_lshlrev_b32_e32 v10, 3, v0
	v_mov_b32_e32 v3, v2
	ds_write_b64 v10, v[2:3]
	v_lshlrev_b32_e32 v2, 2, v0
	s_waitcnt lgkmcnt(0)
	v_cmp_gt_i64_e32 vcc, s[34:35], v[0:1]
	ds_write_b32 v2, v1 offset:8192
	s_waitcnt lgkmcnt(0)
	s_barrier
	s_and_saveexec_b64 s[0:1], vcc
	s_cbranch_execz .LBB4_51
; %bb.1:
	s_load_dwordx8 s[24:31], s[4:5], 0x8
	s_load_dword s36, s[4:5], 0x28
	s_mov_b32 s7, 0
	s_lshl_b64 s[0:1], s[6:7], 2
	s_movk_i32 s7, 0x7f
	v_cmp_lt_u32_e64 s[14:15], s7, v0
	s_movk_i32 s7, 0xff
	s_waitcnt lgkmcnt(0)
	s_add_u32 s33, s28, s0
	v_cmp_lt_u32_e64 s[16:17], s7, v0
	s_movk_i32 s7, 0x1ff
	s_addc_u32 s38, s29, s1
	v_cmp_lt_u32_e64 s[18:19], s7, v0
	s_movk_i32 s7, 0x3ff
	v_cmp_ne_u32_e64 s[20:21], s7, v0
	s_cmp_lg_u32 s36, 1
	s_mul_i32 s7, s6, s31
	s_mul_hi_u32 s39, s6, s30
	s_cselect_b64 s[36:37], -1, 0
	s_add_i32 s41, s39, s7
	s_mul_i32 s40, s6, s30
	s_lshl_b64 s[40:41], s[40:41], 2
	s_add_u32 s28, s28, s40
	s_mul_i32 s7, s35, s6
	s_mul_hi_u32 s39, s34, s6
	s_addc_u32 s29, s29, s41
	s_add_i32 s7, s39, s7
	s_mul_i32 s6, s34, s6
	s_lshl_b64 s[6:7], s[6:7], 2
	s_add_u32 s6, s26, s6
	v_lshlrev_b32_e32 v4, 2, v0
	s_addc_u32 s7, s27, s7
	v_or_b32_e32 v11, 0x2000, v2
	v_mov_b32_e32 v3, s7
	v_add_co_u32_e32 v2, vcc, s6, v4
	v_addc_co_u32_e32 v3, vcc, 0, v3, vcc
	v_mov_b32_e32 v5, s25
	v_add_co_u32_e32 v4, vcc, s24, v4
	v_cmp_ne_u32_e64 s[0:1], 0, v0
	v_add_u32_e32 v12, -8, v10
	v_add_u32_e32 v13, -4, v11
	v_cmp_lt_u32_e64 s[2:3], 1, v0
	v_add_u32_e32 v14, -16, v10
	v_add_u32_e32 v15, -8, v11
	v_cmp_lt_u32_e64 s[4:5], 3, v0
	v_subrev_u32_e32 v16, 32, v10
	v_add_u32_e32 v17, -16, v11
	v_cmp_lt_u32_e64 s[22:23], 7, v0
	v_subrev_u32_e32 v18, 64, v10
	v_subrev_u32_e32 v19, 32, v11
	v_cmp_lt_u32_e64 s[8:9], 15, v0
	v_add_u32_e32 v20, 0xffffff80, v10
	v_subrev_u32_e32 v21, 64, v11
	v_cmp_lt_u32_e64 s[10:11], 31, v0
	v_add_u32_e32 v22, 0xffffff00, v10
	v_add_u32_e32 v23, 0xffffff80, v11
	v_cmp_lt_u32_e64 s[12:13], 63, v0
	v_add_u32_e32 v24, 0xfffffe00, v10
	v_add_u32_e32 v25, 0xffffff00, v11
	;; [unrolled: 1-line block ×8, first 2 shown]
	v_addc_co_u32_e32 v5, vcc, 0, v5, vcc
	s_mov_b64 s[24:25], 0
	s_branch .LBB4_4
.LBB4_2:                                ;   in Loop: Header=BB4_4 Depth=1
	global_load_dword v6, v[8:9], off
	ds_read_b32 v7, v11
	s_waitcnt vmcnt(0) lgkmcnt(0)
	v_add_f32_e32 v6, v6, v7
	global_store_dword v[8:9], v6, off
.LBB4_3:                                ;   in Loop: Header=BB4_4 Depth=1
	s_or_b64 exec, exec, s[6:7]
	v_add_co_u32_e32 v0, vcc, 0x400, v0
	v_addc_co_u32_e32 v1, vcc, 0, v1, vcc
	v_add_co_u32_e32 v2, vcc, 0x1000, v2
	v_addc_co_u32_e32 v3, vcc, 0, v3, vcc
	v_add_co_u32_e32 v4, vcc, 0x1000, v4
	v_cmp_le_i64_e64 s[6:7], s[34:35], v[0:1]
	s_or_b64 s[24:25], s[6:7], s[24:25]
	v_addc_co_u32_e32 v5, vcc, 0, v5, vcc
	s_barrier
	s_andn2_b64 exec, exec, s[24:25]
	s_cbranch_execz .LBB4_51
.LBB4_4:                                ; =>This Inner Loop Header: Depth=1
	global_load_dword v8, v[4:5], off
	global_load_dword v7, v[2:3], off
	v_mov_b32_e32 v6, 0
	s_waitcnt vmcnt(1)
	v_ashrrev_i32_e32 v9, 31, v8
	s_waitcnt vmcnt(0)
	ds_write_b32 v11, v7
	ds_write_b64 v10, v[8:9]
	v_mov_b32_e32 v7, 0
	s_waitcnt lgkmcnt(0)
	s_barrier
	s_and_saveexec_b64 s[6:7], s[0:1]
	s_cbranch_execz .LBB4_8
; %bb.5:                                ;   in Loop: Header=BB4_4 Depth=1
	ds_read2_b64 v[32:35], v12 offset1:1
	v_mov_b32_e32 v7, 0
	s_waitcnt lgkmcnt(0)
	v_cmp_eq_u64_e32 vcc, v[34:35], v[32:33]
	s_and_saveexec_b64 s[26:27], vcc
	s_cbranch_execz .LBB4_7
; %bb.6:                                ;   in Loop: Header=BB4_4 Depth=1
	ds_read_b32 v7, v13
.LBB4_7:                                ;   in Loop: Header=BB4_4 Depth=1
	s_or_b64 exec, exec, s[26:27]
.LBB4_8:                                ;   in Loop: Header=BB4_4 Depth=1
	s_or_b64 exec, exec, s[6:7]
	s_waitcnt lgkmcnt(0)
	s_barrier
	ds_read_b32 v8, v11
	s_waitcnt lgkmcnt(0)
	v_add_f32_e32 v7, v7, v8
	ds_write_b32 v11, v7
	s_waitcnt lgkmcnt(0)
	s_barrier
	s_and_saveexec_b64 s[6:7], s[2:3]
	s_cbranch_execz .LBB4_12
; %bb.9:                                ;   in Loop: Header=BB4_4 Depth=1
	ds_read_b64 v[6:7], v10
	ds_read_b64 v[8:9], v14
	s_waitcnt lgkmcnt(0)
	v_cmp_eq_u64_e32 vcc, v[6:7], v[8:9]
	v_mov_b32_e32 v6, 0
	s_and_saveexec_b64 s[26:27], vcc
	s_cbranch_execz .LBB4_11
; %bb.10:                               ;   in Loop: Header=BB4_4 Depth=1
	ds_read_b32 v6, v15
.LBB4_11:                               ;   in Loop: Header=BB4_4 Depth=1
	s_or_b64 exec, exec, s[26:27]
.LBB4_12:                               ;   in Loop: Header=BB4_4 Depth=1
	s_or_b64 exec, exec, s[6:7]
	s_waitcnt lgkmcnt(0)
	s_barrier
	ds_read_b32 v7, v11
	s_waitcnt lgkmcnt(0)
	v_add_f32_e32 v6, v6, v7
	ds_write_b32 v11, v6
	v_mov_b32_e32 v6, 0
	v_mov_b32_e32 v7, 0
	s_waitcnt lgkmcnt(0)
	s_barrier
	s_and_saveexec_b64 s[6:7], s[4:5]
	s_cbranch_execz .LBB4_16
; %bb.13:                               ;   in Loop: Header=BB4_4 Depth=1
	ds_read_b64 v[8:9], v10
	ds_read_b64 v[32:33], v16
	v_mov_b32_e32 v7, 0
	s_waitcnt lgkmcnt(0)
	v_cmp_eq_u64_e32 vcc, v[8:9], v[32:33]
	s_and_saveexec_b64 s[26:27], vcc
	s_cbranch_execz .LBB4_15
; %bb.14:                               ;   in Loop: Header=BB4_4 Depth=1
	ds_read_b32 v7, v17
.LBB4_15:                               ;   in Loop: Header=BB4_4 Depth=1
	s_or_b64 exec, exec, s[26:27]
.LBB4_16:                               ;   in Loop: Header=BB4_4 Depth=1
	s_or_b64 exec, exec, s[6:7]
	s_waitcnt lgkmcnt(0)
	s_barrier
	ds_read_b32 v8, v11
	s_waitcnt lgkmcnt(0)
	v_add_f32_e32 v7, v7, v8
	ds_write_b32 v11, v7
	s_waitcnt lgkmcnt(0)
	s_barrier
	s_and_saveexec_b64 s[6:7], s[22:23]
	s_cbranch_execz .LBB4_20
; %bb.17:                               ;   in Loop: Header=BB4_4 Depth=1
	ds_read_b64 v[6:7], v10
	ds_read_b64 v[8:9], v18
	s_waitcnt lgkmcnt(0)
	v_cmp_eq_u64_e32 vcc, v[6:7], v[8:9]
	v_mov_b32_e32 v6, 0
	s_and_saveexec_b64 s[26:27], vcc
	s_cbranch_execz .LBB4_19
; %bb.18:                               ;   in Loop: Header=BB4_4 Depth=1
	ds_read_b32 v6, v19
.LBB4_19:                               ;   in Loop: Header=BB4_4 Depth=1
	s_or_b64 exec, exec, s[26:27]
.LBB4_20:                               ;   in Loop: Header=BB4_4 Depth=1
	s_or_b64 exec, exec, s[6:7]
	s_waitcnt lgkmcnt(0)
	s_barrier
	ds_read_b32 v7, v11
	s_waitcnt lgkmcnt(0)
	v_add_f32_e32 v6, v6, v7
	ds_write_b32 v11, v6
	v_mov_b32_e32 v6, 0
	v_mov_b32_e32 v7, 0
	s_waitcnt lgkmcnt(0)
	s_barrier
	s_and_saveexec_b64 s[6:7], s[8:9]
	s_cbranch_execz .LBB4_24
; %bb.21:                               ;   in Loop: Header=BB4_4 Depth=1
	ds_read_b64 v[8:9], v10
	ds_read_b64 v[32:33], v20
	v_mov_b32_e32 v7, 0
	s_waitcnt lgkmcnt(0)
	v_cmp_eq_u64_e32 vcc, v[8:9], v[32:33]
	s_and_saveexec_b64 s[26:27], vcc
	s_cbranch_execz .LBB4_23
; %bb.22:                               ;   in Loop: Header=BB4_4 Depth=1
	ds_read_b32 v7, v21
.LBB4_23:                               ;   in Loop: Header=BB4_4 Depth=1
	s_or_b64 exec, exec, s[26:27]
.LBB4_24:                               ;   in Loop: Header=BB4_4 Depth=1
	s_or_b64 exec, exec, s[6:7]
	s_waitcnt lgkmcnt(0)
	s_barrier
	ds_read_b32 v8, v11
	s_waitcnt lgkmcnt(0)
	v_add_f32_e32 v7, v7, v8
	ds_write_b32 v11, v7
	s_waitcnt lgkmcnt(0)
	s_barrier
	s_and_saveexec_b64 s[6:7], s[10:11]
	s_cbranch_execz .LBB4_28
; %bb.25:                               ;   in Loop: Header=BB4_4 Depth=1
	ds_read_b64 v[6:7], v10
	ds_read_b64 v[8:9], v22
	s_waitcnt lgkmcnt(0)
	v_cmp_eq_u64_e32 vcc, v[6:7], v[8:9]
	v_mov_b32_e32 v6, 0
	s_and_saveexec_b64 s[26:27], vcc
	s_cbranch_execz .LBB4_27
; %bb.26:                               ;   in Loop: Header=BB4_4 Depth=1
	ds_read_b32 v6, v23
.LBB4_27:                               ;   in Loop: Header=BB4_4 Depth=1
	s_or_b64 exec, exec, s[26:27]
.LBB4_28:                               ;   in Loop: Header=BB4_4 Depth=1
	;; [unrolled: 50-line block ×4, first 2 shown]
	s_or_b64 exec, exec, s[6:7]
	s_waitcnt lgkmcnt(0)
	s_barrier
	ds_read_b32 v7, v11
	v_pk_mov_b32 v[8:9], -1, -1
	s_waitcnt lgkmcnt(0)
	v_add_f32_e32 v6, v6, v7
	ds_write_b32 v11, v6
	s_waitcnt lgkmcnt(0)
	s_barrier
	ds_read_b64 v[6:7], v10
	s_and_saveexec_b64 s[6:7], s[20:21]
	s_cbranch_execz .LBB4_46
; %bb.45:                               ;   in Loop: Header=BB4_4 Depth=1
	ds_read_b64 v[8:9], v10 offset:8
.LBB4_46:                               ;   in Loop: Header=BB4_4 Depth=1
	s_or_b64 exec, exec, s[6:7]
	s_waitcnt lgkmcnt(0)
	v_cmp_ne_u64_e32 vcc, v[6:7], v[8:9]
	v_cmp_lt_i64_e64 s[6:7], -1, v[6:7]
	s_and_b64 s[26:27], s[6:7], vcc
	s_and_saveexec_b64 s[6:7], s[26:27]
	s_cbranch_execz .LBB4_3
; %bb.47:                               ;   in Loop: Header=BB4_4 Depth=1
	s_and_b64 vcc, exec, s[36:37]
	s_cbranch_vccz .LBB4_49
; %bb.48:                               ;   in Loop: Header=BB4_4 Depth=1
	v_mul_lo_u32 v32, v7, s30
	v_mul_lo_u32 v33, v6, s31
	v_mad_u64_u32 v[8:9], s[26:27], v6, s30, 0
	v_add3_u32 v9, v9, v33, v32
	v_lshlrev_b64 v[8:9], 2, v[8:9]
	v_mov_b32_e32 v32, s38
	v_add_co_u32_e32 v8, vcc, s33, v8
	v_addc_co_u32_e32 v9, vcc, v32, v9, vcc
	s_cbranch_execnz .LBB4_2
	s_branch .LBB4_50
.LBB4_49:                               ;   in Loop: Header=BB4_4 Depth=1
                                        ; implicit-def: $vgpr8_vgpr9
.LBB4_50:                               ;   in Loop: Header=BB4_4 Depth=1
	v_lshlrev_b64 v[6:7], 2, v[6:7]
	v_mov_b32_e32 v9, s29
	v_add_co_u32_e32 v8, vcc, s28, v6
	v_addc_co_u32_e32 v9, vcc, v9, v7, vcc
	s_branch .LBB4_2
.LBB4_51:
	s_endpgm
	.section	.rodata,"a",@progbits
	.p2align	6, 0x0
	.amdhsa_kernel _ZN9rocsparseL28csrmmnn_general_block_reduceILj1024EliffEEvT0_PKT1_PKT3_PT2_l16rocsparse_order_
		.amdhsa_group_segment_fixed_size 12288
		.amdhsa_private_segment_fixed_size 0
		.amdhsa_kernarg_size 44
		.amdhsa_user_sgpr_count 6
		.amdhsa_user_sgpr_private_segment_buffer 1
		.amdhsa_user_sgpr_dispatch_ptr 0
		.amdhsa_user_sgpr_queue_ptr 0
		.amdhsa_user_sgpr_kernarg_segment_ptr 1
		.amdhsa_user_sgpr_dispatch_id 0
		.amdhsa_user_sgpr_flat_scratch_init 0
		.amdhsa_user_sgpr_kernarg_preload_length 0
		.amdhsa_user_sgpr_kernarg_preload_offset 0
		.amdhsa_user_sgpr_private_segment_size 0
		.amdhsa_uses_dynamic_stack 0
		.amdhsa_system_sgpr_private_segment_wavefront_offset 0
		.amdhsa_system_sgpr_workgroup_id_x 1
		.amdhsa_system_sgpr_workgroup_id_y 0
		.amdhsa_system_sgpr_workgroup_id_z 0
		.amdhsa_system_sgpr_workgroup_info 0
		.amdhsa_system_vgpr_workitem_id 0
		.amdhsa_next_free_vgpr 36
		.amdhsa_next_free_sgpr 42
		.amdhsa_accum_offset 36
		.amdhsa_reserve_vcc 1
		.amdhsa_reserve_flat_scratch 0
		.amdhsa_float_round_mode_32 0
		.amdhsa_float_round_mode_16_64 0
		.amdhsa_float_denorm_mode_32 3
		.amdhsa_float_denorm_mode_16_64 3
		.amdhsa_dx10_clamp 1
		.amdhsa_ieee_mode 1
		.amdhsa_fp16_overflow 0
		.amdhsa_tg_split 0
		.amdhsa_exception_fp_ieee_invalid_op 0
		.amdhsa_exception_fp_denorm_src 0
		.amdhsa_exception_fp_ieee_div_zero 0
		.amdhsa_exception_fp_ieee_overflow 0
		.amdhsa_exception_fp_ieee_underflow 0
		.amdhsa_exception_fp_ieee_inexact 0
		.amdhsa_exception_int_div_zero 0
	.end_amdhsa_kernel
	.section	.text._ZN9rocsparseL28csrmmnn_general_block_reduceILj1024EliffEEvT0_PKT1_PKT3_PT2_l16rocsparse_order_,"axG",@progbits,_ZN9rocsparseL28csrmmnn_general_block_reduceILj1024EliffEEvT0_PKT1_PKT3_PT2_l16rocsparse_order_,comdat
.Lfunc_end4:
	.size	_ZN9rocsparseL28csrmmnn_general_block_reduceILj1024EliffEEvT0_PKT1_PKT3_PT2_l16rocsparse_order_, .Lfunc_end4-_ZN9rocsparseL28csrmmnn_general_block_reduceILj1024EliffEEvT0_PKT1_PKT3_PT2_l16rocsparse_order_
                                        ; -- End function
	.section	.AMDGPU.csdata,"",@progbits
; Kernel info:
; codeLenInByte = 1780
; NumSgprs: 46
; NumVgprs: 36
; NumAgprs: 0
; TotalNumVgprs: 36
; ScratchSize: 0
; MemoryBound: 0
; FloatMode: 240
; IeeeMode: 1
; LDSByteSize: 12288 bytes/workgroup (compile time only)
; SGPRBlocks: 5
; VGPRBlocks: 4
; NumSGPRsForWavesPerEU: 46
; NumVGPRsForWavesPerEU: 36
; AccumOffset: 36
; Occupancy: 8
; WaveLimiterHint : 0
; COMPUTE_PGM_RSRC2:SCRATCH_EN: 0
; COMPUTE_PGM_RSRC2:USER_SGPR: 6
; COMPUTE_PGM_RSRC2:TRAP_HANDLER: 0
; COMPUTE_PGM_RSRC2:TGID_X_EN: 1
; COMPUTE_PGM_RSRC2:TGID_Y_EN: 0
; COMPUTE_PGM_RSRC2:TGID_Z_EN: 0
; COMPUTE_PGM_RSRC2:TIDIG_COMP_CNT: 0
; COMPUTE_PGM_RSRC3_GFX90A:ACCUM_OFFSET: 8
; COMPUTE_PGM_RSRC3_GFX90A:TG_SPLIT: 0
	.section	.text._ZN9rocsparseL28csrmmnn_general_block_reduceILj1024EllffEEvT0_PKT1_PKT3_PT2_l16rocsparse_order_,"axG",@progbits,_ZN9rocsparseL28csrmmnn_general_block_reduceILj1024EllffEEvT0_PKT1_PKT3_PT2_l16rocsparse_order_,comdat
	.globl	_ZN9rocsparseL28csrmmnn_general_block_reduceILj1024EllffEEvT0_PKT1_PKT3_PT2_l16rocsparse_order_ ; -- Begin function _ZN9rocsparseL28csrmmnn_general_block_reduceILj1024EllffEEvT0_PKT1_PKT3_PT2_l16rocsparse_order_
	.p2align	8
	.type	_ZN9rocsparseL28csrmmnn_general_block_reduceILj1024EllffEEvT0_PKT1_PKT3_PT2_l16rocsparse_order_,@function
_ZN9rocsparseL28csrmmnn_general_block_reduceILj1024EllffEEvT0_PKT1_PKT3_PT2_l16rocsparse_order_: ; @_ZN9rocsparseL28csrmmnn_general_block_reduceILj1024EllffEEvT0_PKT1_PKT3_PT2_l16rocsparse_order_
; %bb.0:
	s_load_dwordx2 s[34:35], s[4:5], 0x0
	v_mov_b32_e32 v2, -1
	v_mov_b32_e32 v1, 0
	v_lshlrev_b32_e32 v10, 3, v0
	v_mov_b32_e32 v3, v2
	ds_write_b64 v10, v[2:3]
	v_lshlrev_b32_e32 v2, 2, v0
	s_waitcnt lgkmcnt(0)
	v_cmp_gt_i64_e32 vcc, s[34:35], v[0:1]
	ds_write_b32 v2, v1 offset:8192
	s_waitcnt lgkmcnt(0)
	s_barrier
	s_and_saveexec_b64 s[0:1], vcc
	s_cbranch_execz .LBB5_51
; %bb.1:
	s_load_dwordx8 s[24:31], s[4:5], 0x8
	s_load_dword s36, s[4:5], 0x28
	s_mov_b32 s7, 0
	s_lshl_b64 s[0:1], s[6:7], 2
	s_movk_i32 s7, 0x7f
	v_cmp_lt_u32_e64 s[14:15], s7, v0
	s_movk_i32 s7, 0xff
	s_waitcnt lgkmcnt(0)
	s_add_u32 s33, s28, s0
	v_cmp_lt_u32_e64 s[16:17], s7, v0
	s_movk_i32 s7, 0x1ff
	s_addc_u32 s38, s29, s1
	v_cmp_lt_u32_e64 s[18:19], s7, v0
	s_movk_i32 s7, 0x3ff
	v_cmp_ne_u32_e64 s[20:21], s7, v0
	s_cmp_lg_u32 s36, 1
	s_mul_i32 s7, s6, s31
	s_mul_hi_u32 s39, s6, s30
	s_cselect_b64 s[36:37], -1, 0
	s_add_i32 s41, s39, s7
	s_mul_i32 s40, s6, s30
	s_lshl_b64 s[40:41], s[40:41], 2
	s_add_u32 s28, s28, s40
	s_mul_i32 s7, s35, s6
	s_mul_hi_u32 s39, s34, s6
	s_addc_u32 s29, s29, s41
	s_add_i32 s7, s39, s7
	s_mul_i32 s6, s34, s6
	s_lshl_b64 s[6:7], s[6:7], 2
	s_add_u32 s6, s26, s6
	v_or_b32_e32 v11, 0x2000, v2
	v_lshlrev_b32_e32 v2, 2, v0
	s_addc_u32 s7, s27, s7
	v_mov_b32_e32 v3, s7
	v_add_co_u32_e32 v2, vcc, s6, v2
	v_addc_co_u32_e32 v3, vcc, 0, v3, vcc
	v_lshlrev_b32_e32 v4, 3, v0
	v_mov_b32_e32 v5, s25
	v_add_co_u32_e32 v4, vcc, s24, v4
	v_cmp_ne_u32_e64 s[0:1], 0, v0
	v_add_u32_e32 v12, -8, v10
	v_add_u32_e32 v13, -4, v11
	v_cmp_lt_u32_e64 s[2:3], 1, v0
	v_add_u32_e32 v14, -16, v10
	v_add_u32_e32 v15, -8, v11
	v_cmp_lt_u32_e64 s[4:5], 3, v0
	v_subrev_u32_e32 v16, 32, v10
	v_add_u32_e32 v17, -16, v11
	v_cmp_lt_u32_e64 s[22:23], 7, v0
	v_subrev_u32_e32 v18, 64, v10
	v_subrev_u32_e32 v19, 32, v11
	v_cmp_lt_u32_e64 s[8:9], 15, v0
	v_add_u32_e32 v20, 0xffffff80, v10
	v_subrev_u32_e32 v21, 64, v11
	v_cmp_lt_u32_e64 s[10:11], 31, v0
	v_add_u32_e32 v22, 0xffffff00, v10
	v_add_u32_e32 v23, 0xffffff80, v11
	v_cmp_lt_u32_e64 s[12:13], 63, v0
	v_add_u32_e32 v24, 0xfffffe00, v10
	v_add_u32_e32 v25, 0xffffff00, v11
	;; [unrolled: 1-line block ×8, first 2 shown]
	v_addc_co_u32_e32 v5, vcc, 0, v5, vcc
	s_mov_b64 s[24:25], 0
	s_branch .LBB5_4
.LBB5_2:                                ;   in Loop: Header=BB5_4 Depth=1
	global_load_dword v6, v[8:9], off
	ds_read_b32 v7, v11
	s_waitcnt vmcnt(0) lgkmcnt(0)
	v_add_f32_e32 v6, v6, v7
	global_store_dword v[8:9], v6, off
.LBB5_3:                                ;   in Loop: Header=BB5_4 Depth=1
	s_or_b64 exec, exec, s[6:7]
	v_add_co_u32_e32 v0, vcc, 0x400, v0
	v_addc_co_u32_e32 v1, vcc, 0, v1, vcc
	v_add_co_u32_e32 v2, vcc, 0x1000, v2
	v_addc_co_u32_e32 v3, vcc, 0, v3, vcc
	v_add_co_u32_e32 v4, vcc, 0x2000, v4
	v_cmp_le_i64_e64 s[6:7], s[34:35], v[0:1]
	s_or_b64 s[24:25], s[6:7], s[24:25]
	v_addc_co_u32_e32 v5, vcc, 0, v5, vcc
	s_barrier
	s_andn2_b64 exec, exec, s[24:25]
	s_cbranch_execz .LBB5_51
.LBB5_4:                                ; =>This Inner Loop Header: Depth=1
	global_load_dwordx2 v[8:9], v[4:5], off
	global_load_dword v7, v[2:3], off
	v_mov_b32_e32 v6, 0
	s_waitcnt vmcnt(1)
	ds_write_b64 v10, v[8:9]
	s_waitcnt vmcnt(0)
	ds_write_b32 v11, v7
	v_mov_b32_e32 v7, 0
	s_waitcnt lgkmcnt(0)
	s_barrier
	s_and_saveexec_b64 s[6:7], s[0:1]
	s_cbranch_execz .LBB5_8
; %bb.5:                                ;   in Loop: Header=BB5_4 Depth=1
	ds_read2_b64 v[32:35], v12 offset1:1
	v_mov_b32_e32 v7, 0
	s_waitcnt lgkmcnt(0)
	v_cmp_eq_u64_e32 vcc, v[34:35], v[32:33]
	s_and_saveexec_b64 s[26:27], vcc
	s_cbranch_execz .LBB5_7
; %bb.6:                                ;   in Loop: Header=BB5_4 Depth=1
	ds_read_b32 v7, v13
.LBB5_7:                                ;   in Loop: Header=BB5_4 Depth=1
	s_or_b64 exec, exec, s[26:27]
.LBB5_8:                                ;   in Loop: Header=BB5_4 Depth=1
	s_or_b64 exec, exec, s[6:7]
	s_waitcnt lgkmcnt(0)
	s_barrier
	ds_read_b32 v8, v11
	s_waitcnt lgkmcnt(0)
	v_add_f32_e32 v7, v7, v8
	ds_write_b32 v11, v7
	s_waitcnt lgkmcnt(0)
	s_barrier
	s_and_saveexec_b64 s[6:7], s[2:3]
	s_cbranch_execz .LBB5_12
; %bb.9:                                ;   in Loop: Header=BB5_4 Depth=1
	ds_read_b64 v[6:7], v10
	ds_read_b64 v[8:9], v14
	s_waitcnt lgkmcnt(0)
	v_cmp_eq_u64_e32 vcc, v[6:7], v[8:9]
	v_mov_b32_e32 v6, 0
	s_and_saveexec_b64 s[26:27], vcc
	s_cbranch_execz .LBB5_11
; %bb.10:                               ;   in Loop: Header=BB5_4 Depth=1
	ds_read_b32 v6, v15
.LBB5_11:                               ;   in Loop: Header=BB5_4 Depth=1
	s_or_b64 exec, exec, s[26:27]
.LBB5_12:                               ;   in Loop: Header=BB5_4 Depth=1
	s_or_b64 exec, exec, s[6:7]
	s_waitcnt lgkmcnt(0)
	s_barrier
	ds_read_b32 v7, v11
	s_waitcnt lgkmcnt(0)
	v_add_f32_e32 v6, v6, v7
	ds_write_b32 v11, v6
	v_mov_b32_e32 v6, 0
	v_mov_b32_e32 v7, 0
	s_waitcnt lgkmcnt(0)
	s_barrier
	s_and_saveexec_b64 s[6:7], s[4:5]
	s_cbranch_execz .LBB5_16
; %bb.13:                               ;   in Loop: Header=BB5_4 Depth=1
	ds_read_b64 v[8:9], v10
	ds_read_b64 v[32:33], v16
	v_mov_b32_e32 v7, 0
	s_waitcnt lgkmcnt(0)
	v_cmp_eq_u64_e32 vcc, v[8:9], v[32:33]
	s_and_saveexec_b64 s[26:27], vcc
	s_cbranch_execz .LBB5_15
; %bb.14:                               ;   in Loop: Header=BB5_4 Depth=1
	ds_read_b32 v7, v17
.LBB5_15:                               ;   in Loop: Header=BB5_4 Depth=1
	s_or_b64 exec, exec, s[26:27]
.LBB5_16:                               ;   in Loop: Header=BB5_4 Depth=1
	s_or_b64 exec, exec, s[6:7]
	s_waitcnt lgkmcnt(0)
	s_barrier
	ds_read_b32 v8, v11
	s_waitcnt lgkmcnt(0)
	v_add_f32_e32 v7, v7, v8
	ds_write_b32 v11, v7
	s_waitcnt lgkmcnt(0)
	s_barrier
	s_and_saveexec_b64 s[6:7], s[22:23]
	s_cbranch_execz .LBB5_20
; %bb.17:                               ;   in Loop: Header=BB5_4 Depth=1
	ds_read_b64 v[6:7], v10
	ds_read_b64 v[8:9], v18
	s_waitcnt lgkmcnt(0)
	v_cmp_eq_u64_e32 vcc, v[6:7], v[8:9]
	v_mov_b32_e32 v6, 0
	s_and_saveexec_b64 s[26:27], vcc
	s_cbranch_execz .LBB5_19
; %bb.18:                               ;   in Loop: Header=BB5_4 Depth=1
	ds_read_b32 v6, v19
.LBB5_19:                               ;   in Loop: Header=BB5_4 Depth=1
	s_or_b64 exec, exec, s[26:27]
.LBB5_20:                               ;   in Loop: Header=BB5_4 Depth=1
	s_or_b64 exec, exec, s[6:7]
	s_waitcnt lgkmcnt(0)
	s_barrier
	ds_read_b32 v7, v11
	s_waitcnt lgkmcnt(0)
	v_add_f32_e32 v6, v6, v7
	ds_write_b32 v11, v6
	v_mov_b32_e32 v6, 0
	v_mov_b32_e32 v7, 0
	s_waitcnt lgkmcnt(0)
	s_barrier
	s_and_saveexec_b64 s[6:7], s[8:9]
	s_cbranch_execz .LBB5_24
; %bb.21:                               ;   in Loop: Header=BB5_4 Depth=1
	ds_read_b64 v[8:9], v10
	ds_read_b64 v[32:33], v20
	v_mov_b32_e32 v7, 0
	s_waitcnt lgkmcnt(0)
	v_cmp_eq_u64_e32 vcc, v[8:9], v[32:33]
	s_and_saveexec_b64 s[26:27], vcc
	s_cbranch_execz .LBB5_23
; %bb.22:                               ;   in Loop: Header=BB5_4 Depth=1
	ds_read_b32 v7, v21
.LBB5_23:                               ;   in Loop: Header=BB5_4 Depth=1
	s_or_b64 exec, exec, s[26:27]
.LBB5_24:                               ;   in Loop: Header=BB5_4 Depth=1
	s_or_b64 exec, exec, s[6:7]
	s_waitcnt lgkmcnt(0)
	s_barrier
	ds_read_b32 v8, v11
	s_waitcnt lgkmcnt(0)
	v_add_f32_e32 v7, v7, v8
	ds_write_b32 v11, v7
	s_waitcnt lgkmcnt(0)
	s_barrier
	s_and_saveexec_b64 s[6:7], s[10:11]
	s_cbranch_execz .LBB5_28
; %bb.25:                               ;   in Loop: Header=BB5_4 Depth=1
	ds_read_b64 v[6:7], v10
	ds_read_b64 v[8:9], v22
	s_waitcnt lgkmcnt(0)
	v_cmp_eq_u64_e32 vcc, v[6:7], v[8:9]
	v_mov_b32_e32 v6, 0
	s_and_saveexec_b64 s[26:27], vcc
	s_cbranch_execz .LBB5_27
; %bb.26:                               ;   in Loop: Header=BB5_4 Depth=1
	ds_read_b32 v6, v23
.LBB5_27:                               ;   in Loop: Header=BB5_4 Depth=1
	s_or_b64 exec, exec, s[26:27]
.LBB5_28:                               ;   in Loop: Header=BB5_4 Depth=1
	;; [unrolled: 50-line block ×4, first 2 shown]
	s_or_b64 exec, exec, s[6:7]
	s_waitcnt lgkmcnt(0)
	s_barrier
	ds_read_b32 v7, v11
	v_pk_mov_b32 v[8:9], -1, -1
	s_waitcnt lgkmcnt(0)
	v_add_f32_e32 v6, v6, v7
	ds_write_b32 v11, v6
	s_waitcnt lgkmcnt(0)
	s_barrier
	ds_read_b64 v[6:7], v10
	s_and_saveexec_b64 s[6:7], s[20:21]
	s_cbranch_execz .LBB5_46
; %bb.45:                               ;   in Loop: Header=BB5_4 Depth=1
	ds_read_b64 v[8:9], v10 offset:8
.LBB5_46:                               ;   in Loop: Header=BB5_4 Depth=1
	s_or_b64 exec, exec, s[6:7]
	s_waitcnt lgkmcnt(0)
	v_cmp_ne_u64_e32 vcc, v[6:7], v[8:9]
	v_cmp_lt_i64_e64 s[6:7], -1, v[6:7]
	s_and_b64 s[26:27], s[6:7], vcc
	s_and_saveexec_b64 s[6:7], s[26:27]
	s_cbranch_execz .LBB5_3
; %bb.47:                               ;   in Loop: Header=BB5_4 Depth=1
	s_and_b64 vcc, exec, s[36:37]
	s_cbranch_vccz .LBB5_49
; %bb.48:                               ;   in Loop: Header=BB5_4 Depth=1
	v_mul_lo_u32 v32, v7, s30
	v_mul_lo_u32 v33, v6, s31
	v_mad_u64_u32 v[8:9], s[26:27], v6, s30, 0
	v_add3_u32 v9, v9, v33, v32
	v_lshlrev_b64 v[8:9], 2, v[8:9]
	v_mov_b32_e32 v32, s38
	v_add_co_u32_e32 v8, vcc, s33, v8
	v_addc_co_u32_e32 v9, vcc, v32, v9, vcc
	s_cbranch_execnz .LBB5_2
	s_branch .LBB5_50
.LBB5_49:                               ;   in Loop: Header=BB5_4 Depth=1
                                        ; implicit-def: $vgpr8_vgpr9
.LBB5_50:                               ;   in Loop: Header=BB5_4 Depth=1
	v_lshlrev_b64 v[6:7], 2, v[6:7]
	v_mov_b32_e32 v9, s29
	v_add_co_u32_e32 v8, vcc, s28, v6
	v_addc_co_u32_e32 v9, vcc, v9, v7, vcc
	s_branch .LBB5_2
.LBB5_51:
	s_endpgm
	.section	.rodata,"a",@progbits
	.p2align	6, 0x0
	.amdhsa_kernel _ZN9rocsparseL28csrmmnn_general_block_reduceILj1024EllffEEvT0_PKT1_PKT3_PT2_l16rocsparse_order_
		.amdhsa_group_segment_fixed_size 12288
		.amdhsa_private_segment_fixed_size 0
		.amdhsa_kernarg_size 44
		.amdhsa_user_sgpr_count 6
		.amdhsa_user_sgpr_private_segment_buffer 1
		.amdhsa_user_sgpr_dispatch_ptr 0
		.amdhsa_user_sgpr_queue_ptr 0
		.amdhsa_user_sgpr_kernarg_segment_ptr 1
		.amdhsa_user_sgpr_dispatch_id 0
		.amdhsa_user_sgpr_flat_scratch_init 0
		.amdhsa_user_sgpr_kernarg_preload_length 0
		.amdhsa_user_sgpr_kernarg_preload_offset 0
		.amdhsa_user_sgpr_private_segment_size 0
		.amdhsa_uses_dynamic_stack 0
		.amdhsa_system_sgpr_private_segment_wavefront_offset 0
		.amdhsa_system_sgpr_workgroup_id_x 1
		.amdhsa_system_sgpr_workgroup_id_y 0
		.amdhsa_system_sgpr_workgroup_id_z 0
		.amdhsa_system_sgpr_workgroup_info 0
		.amdhsa_system_vgpr_workitem_id 0
		.amdhsa_next_free_vgpr 36
		.amdhsa_next_free_sgpr 42
		.amdhsa_accum_offset 36
		.amdhsa_reserve_vcc 1
		.amdhsa_reserve_flat_scratch 0
		.amdhsa_float_round_mode_32 0
		.amdhsa_float_round_mode_16_64 0
		.amdhsa_float_denorm_mode_32 3
		.amdhsa_float_denorm_mode_16_64 3
		.amdhsa_dx10_clamp 1
		.amdhsa_ieee_mode 1
		.amdhsa_fp16_overflow 0
		.amdhsa_tg_split 0
		.amdhsa_exception_fp_ieee_invalid_op 0
		.amdhsa_exception_fp_denorm_src 0
		.amdhsa_exception_fp_ieee_div_zero 0
		.amdhsa_exception_fp_ieee_overflow 0
		.amdhsa_exception_fp_ieee_underflow 0
		.amdhsa_exception_fp_ieee_inexact 0
		.amdhsa_exception_int_div_zero 0
	.end_amdhsa_kernel
	.section	.text._ZN9rocsparseL28csrmmnn_general_block_reduceILj1024EllffEEvT0_PKT1_PKT3_PT2_l16rocsparse_order_,"axG",@progbits,_ZN9rocsparseL28csrmmnn_general_block_reduceILj1024EllffEEvT0_PKT1_PKT3_PT2_l16rocsparse_order_,comdat
.Lfunc_end5:
	.size	_ZN9rocsparseL28csrmmnn_general_block_reduceILj1024EllffEEvT0_PKT1_PKT3_PT2_l16rocsparse_order_, .Lfunc_end5-_ZN9rocsparseL28csrmmnn_general_block_reduceILj1024EllffEEvT0_PKT1_PKT3_PT2_l16rocsparse_order_
                                        ; -- End function
	.section	.AMDGPU.csdata,"",@progbits
; Kernel info:
; codeLenInByte = 1780
; NumSgprs: 46
; NumVgprs: 36
; NumAgprs: 0
; TotalNumVgprs: 36
; ScratchSize: 0
; MemoryBound: 0
; FloatMode: 240
; IeeeMode: 1
; LDSByteSize: 12288 bytes/workgroup (compile time only)
; SGPRBlocks: 5
; VGPRBlocks: 4
; NumSGPRsForWavesPerEU: 46
; NumVGPRsForWavesPerEU: 36
; AccumOffset: 36
; Occupancy: 8
; WaveLimiterHint : 0
; COMPUTE_PGM_RSRC2:SCRATCH_EN: 0
; COMPUTE_PGM_RSRC2:USER_SGPR: 6
; COMPUTE_PGM_RSRC2:TRAP_HANDLER: 0
; COMPUTE_PGM_RSRC2:TGID_X_EN: 1
; COMPUTE_PGM_RSRC2:TGID_Y_EN: 0
; COMPUTE_PGM_RSRC2:TGID_Z_EN: 0
; COMPUTE_PGM_RSRC2:TIDIG_COMP_CNT: 0
; COMPUTE_PGM_RSRC3_GFX90A:ACCUM_OFFSET: 8
; COMPUTE_PGM_RSRC3_GFX90A:TG_SPLIT: 0
	.section	.text._ZN9rocsparseL28csrmmnn_general_block_reduceILj1024EiiddEEvT0_PKT1_PKT3_PT2_l16rocsparse_order_,"axG",@progbits,_ZN9rocsparseL28csrmmnn_general_block_reduceILj1024EiiddEEvT0_PKT1_PKT3_PT2_l16rocsparse_order_,comdat
	.globl	_ZN9rocsparseL28csrmmnn_general_block_reduceILj1024EiiddEEvT0_PKT1_PKT3_PT2_l16rocsparse_order_ ; -- Begin function _ZN9rocsparseL28csrmmnn_general_block_reduceILj1024EiiddEEvT0_PKT1_PKT3_PT2_l16rocsparse_order_
	.p2align	8
	.type	_ZN9rocsparseL28csrmmnn_general_block_reduceILj1024EiiddEEvT0_PKT1_PKT3_PT2_l16rocsparse_order_,@function
_ZN9rocsparseL28csrmmnn_general_block_reduceILj1024EiiddEEvT0_PKT1_PKT3_PT2_l16rocsparse_order_: ; @_ZN9rocsparseL28csrmmnn_general_block_reduceILj1024EiiddEEvT0_PKT1_PKT3_PT2_l16rocsparse_order_
; %bb.0:
	s_load_dword s33, s[4:5], 0x0
	v_lshlrev_b32_e32 v1, 2, v0
	v_mov_b32_e32 v2, -1
	v_mov_b32_e32 v3, 0
	ds_write_b32 v1, v2 offset:8192
	v_lshlrev_b32_e32 v8, 3, v0
	v_mov_b32_e32 v2, v3
	s_waitcnt lgkmcnt(0)
	v_cmp_gt_i32_e32 vcc, s33, v0
	ds_write_b64 v8, v[2:3]
	s_waitcnt lgkmcnt(0)
	s_barrier
	s_and_saveexec_b64 s[0:1], vcc
	s_cbranch_execz .LBB6_51
; %bb.1:
	s_load_dword s7, s[4:5], 0x28
	s_load_dwordx8 s[24:31], s[4:5], 0x8
	s_mul_i32 s38, s6, s33
	v_or_b32_e32 v9, 0x2000, v1
	s_movk_i32 s14, 0x7f
	s_waitcnt lgkmcnt(0)
	s_cmp_lg_u32 s7, 1
	s_cselect_b64 s[34:35], -1, 0
	s_ashr_i32 s7, s6, 31
	s_lshl_b64 s[36:37], s[6:7], 3
	s_add_u32 s39, s28, s36
	s_addc_u32 s40, s29, s37
	s_mul_i32 s36, s6, s31
	s_mul_hi_u32 s37, s6, s30
	s_add_i32 s36, s37, s36
	s_mul_i32 s7, s7, s30
	s_add_i32 s7, s36, s7
	s_mul_i32 s6, s6, s30
	s_lshl_b64 s[6:7], s[6:7], 3
	s_movk_i32 s16, 0xff
	s_movk_i32 s18, 0x1ff
	;; [unrolled: 1-line block ×3, first 2 shown]
	s_add_u32 s41, s28, s6
	v_cmp_ne_u32_e64 s[0:1], 0, v0
	v_add_u32_e32 v10, -4, v9
	v_add_u32_e32 v11, -8, v8
	v_cmp_lt_u32_e64 s[2:3], 1, v0
	v_add_u32_e32 v12, -8, v9
	v_add_u32_e32 v13, -16, v8
	v_cmp_lt_u32_e64 s[4:5], 3, v0
	v_add_u32_e32 v14, -16, v9
	v_subrev_u32_e32 v15, 32, v8
	v_cmp_lt_u32_e64 s[22:23], 7, v0
	v_subrev_u32_e32 v16, 32, v9
	v_subrev_u32_e32 v17, 64, v8
	v_cmp_lt_u32_e64 s[8:9], 15, v0
	v_subrev_u32_e32 v18, 64, v9
	v_add_u32_e32 v19, 0xffffff80, v8
	v_cmp_lt_u32_e64 s[10:11], 31, v0
	v_add_u32_e32 v20, 0xffffff80, v9
	v_add_u32_e32 v21, 0xffffff00, v8
	v_cmp_lt_u32_e64 s[12:13], 63, v0
	v_add_u32_e32 v22, 0xffffff00, v9
	;; [unrolled: 3-line block ×5, first 2 shown]
	v_add_u32_e32 v29, 0xfffff000, v8
	v_cmp_ne_u32_e64 s[20:21], s20, v0
	s_addc_u32 s42, s29, s7
	s_mov_b64 s[28:29], 0
	v_mov_b32_e32 v30, s25
	v_mov_b32_e32 v31, s27
	s_branch .LBB6_4
.LBB6_2:                                ;   in Loop: Header=BB6_4 Depth=1
	global_load_dwordx2 v[6:7], v[4:5], off
	ds_read_b64 v[32:33], v8
	s_waitcnt vmcnt(0) lgkmcnt(0)
	v_add_f64 v[6:7], v[6:7], v[32:33]
	global_store_dwordx2 v[4:5], v[6:7], off
.LBB6_3:                                ;   in Loop: Header=BB6_4 Depth=1
	s_or_b64 exec, exec, s[6:7]
	v_add_u32_e32 v0, 0x400, v0
	v_cmp_le_i32_e32 vcc, s33, v0
	s_or_b64 s[28:29], vcc, s[28:29]
	s_barrier
	s_andn2_b64 exec, exec, s[28:29]
	s_cbranch_execz .LBB6_51
.LBB6_4:                                ; =>This Inner Loop Header: Depth=1
	v_ashrrev_i32_e32 v1, 31, v0
	v_lshlrev_b64 v[4:5], 2, v[0:1]
	v_add_co_u32_e32 v4, vcc, s24, v4
	v_addc_co_u32_e32 v5, vcc, v30, v5, vcc
	global_load_dword v1, v[4:5], off
	v_add_u32_e32 v4, s38, v0
	v_ashrrev_i32_e32 v5, 31, v4
	v_lshlrev_b64 v[4:5], 3, v[4:5]
	v_add_co_u32_e32 v4, vcc, s26, v4
	v_addc_co_u32_e32 v5, vcc, v31, v5, vcc
	global_load_dwordx2 v[6:7], v[4:5], off
	v_pk_mov_b32 v[4:5], 0, 0
	s_waitcnt vmcnt(1)
	ds_write_b32 v9, v1
	s_waitcnt vmcnt(0)
	ds_write_b64 v8, v[6:7]
	v_pk_mov_b32 v[6:7], v[4:5], v[4:5] op_sel:[0,1]
	s_waitcnt lgkmcnt(0)
	s_barrier
	s_and_saveexec_b64 s[6:7], s[0:1]
	s_cbranch_execz .LBB6_8
; %bb.5:                                ;   in Loop: Header=BB6_4 Depth=1
	ds_read2_b32 v[6:7], v10 offset1:1
	s_waitcnt lgkmcnt(0)
	v_cmp_eq_u32_e32 vcc, v7, v6
	v_pk_mov_b32 v[6:7], 0, 0
	s_and_saveexec_b64 s[36:37], vcc
	s_cbranch_execz .LBB6_7
; %bb.6:                                ;   in Loop: Header=BB6_4 Depth=1
	ds_read_b64 v[6:7], v11
.LBB6_7:                                ;   in Loop: Header=BB6_4 Depth=1
	s_or_b64 exec, exec, s[36:37]
.LBB6_8:                                ;   in Loop: Header=BB6_4 Depth=1
	s_or_b64 exec, exec, s[6:7]
	s_waitcnt lgkmcnt(0)
	s_barrier
	ds_read_b64 v[32:33], v8
	s_waitcnt lgkmcnt(0)
	v_add_f64 v[6:7], v[6:7], v[32:33]
	ds_write_b64 v8, v[6:7]
	s_waitcnt lgkmcnt(0)
	s_barrier
	s_and_saveexec_b64 s[6:7], s[2:3]
	s_cbranch_execz .LBB6_12
; %bb.9:                                ;   in Loop: Header=BB6_4 Depth=1
	ds_read_b32 v1, v9
	ds_read_b32 v2, v12
	v_pk_mov_b32 v[4:5], 0, 0
	s_waitcnt lgkmcnt(0)
	v_cmp_eq_u32_e32 vcc, v1, v2
	s_and_saveexec_b64 s[36:37], vcc
	s_cbranch_execz .LBB6_11
; %bb.10:                               ;   in Loop: Header=BB6_4 Depth=1
	ds_read_b64 v[4:5], v13
.LBB6_11:                               ;   in Loop: Header=BB6_4 Depth=1
	s_or_b64 exec, exec, s[36:37]
.LBB6_12:                               ;   in Loop: Header=BB6_4 Depth=1
	s_or_b64 exec, exec, s[6:7]
	s_waitcnt lgkmcnt(0)
	s_barrier
	ds_read_b64 v[6:7], v8
	s_waitcnt lgkmcnt(0)
	v_add_f64 v[4:5], v[4:5], v[6:7]
	ds_write_b64 v8, v[4:5]
	v_pk_mov_b32 v[4:5], 0, 0
	v_pk_mov_b32 v[6:7], v[4:5], v[4:5] op_sel:[0,1]
	s_waitcnt lgkmcnt(0)
	s_barrier
	s_and_saveexec_b64 s[6:7], s[4:5]
	s_cbranch_execz .LBB6_16
; %bb.13:                               ;   in Loop: Header=BB6_4 Depth=1
	ds_read_b32 v1, v9
	ds_read_b32 v2, v14
	v_pk_mov_b32 v[6:7], 0, 0
	s_waitcnt lgkmcnt(0)
	v_cmp_eq_u32_e32 vcc, v1, v2
	s_and_saveexec_b64 s[36:37], vcc
	s_cbranch_execz .LBB6_15
; %bb.14:                               ;   in Loop: Header=BB6_4 Depth=1
	ds_read_b64 v[6:7], v15
.LBB6_15:                               ;   in Loop: Header=BB6_4 Depth=1
	s_or_b64 exec, exec, s[36:37]
.LBB6_16:                               ;   in Loop: Header=BB6_4 Depth=1
	s_or_b64 exec, exec, s[6:7]
	s_waitcnt lgkmcnt(0)
	s_barrier
	ds_read_b64 v[32:33], v8
	s_waitcnt lgkmcnt(0)
	v_add_f64 v[6:7], v[6:7], v[32:33]
	ds_write_b64 v8, v[6:7]
	s_waitcnt lgkmcnt(0)
	s_barrier
	s_and_saveexec_b64 s[6:7], s[22:23]
	s_cbranch_execz .LBB6_20
; %bb.17:                               ;   in Loop: Header=BB6_4 Depth=1
	ds_read_b32 v1, v9
	ds_read_b32 v2, v16
	v_pk_mov_b32 v[4:5], 0, 0
	s_waitcnt lgkmcnt(0)
	v_cmp_eq_u32_e32 vcc, v1, v2
	s_and_saveexec_b64 s[36:37], vcc
	s_cbranch_execz .LBB6_19
; %bb.18:                               ;   in Loop: Header=BB6_4 Depth=1
	ds_read_b64 v[4:5], v17
.LBB6_19:                               ;   in Loop: Header=BB6_4 Depth=1
	s_or_b64 exec, exec, s[36:37]
.LBB6_20:                               ;   in Loop: Header=BB6_4 Depth=1
	s_or_b64 exec, exec, s[6:7]
	s_waitcnt lgkmcnt(0)
	s_barrier
	ds_read_b64 v[6:7], v8
	s_waitcnt lgkmcnt(0)
	v_add_f64 v[4:5], v[4:5], v[6:7]
	ds_write_b64 v8, v[4:5]
	v_pk_mov_b32 v[4:5], 0, 0
	v_pk_mov_b32 v[6:7], v[4:5], v[4:5] op_sel:[0,1]
	s_waitcnt lgkmcnt(0)
	s_barrier
	s_and_saveexec_b64 s[6:7], s[8:9]
	s_cbranch_execz .LBB6_24
; %bb.21:                               ;   in Loop: Header=BB6_4 Depth=1
	ds_read_b32 v1, v9
	ds_read_b32 v2, v18
	v_pk_mov_b32 v[6:7], 0, 0
	s_waitcnt lgkmcnt(0)
	v_cmp_eq_u32_e32 vcc, v1, v2
	s_and_saveexec_b64 s[36:37], vcc
	s_cbranch_execz .LBB6_23
; %bb.22:                               ;   in Loop: Header=BB6_4 Depth=1
	ds_read_b64 v[6:7], v19
.LBB6_23:                               ;   in Loop: Header=BB6_4 Depth=1
	s_or_b64 exec, exec, s[36:37]
.LBB6_24:                               ;   in Loop: Header=BB6_4 Depth=1
	s_or_b64 exec, exec, s[6:7]
	s_waitcnt lgkmcnt(0)
	s_barrier
	ds_read_b64 v[32:33], v8
	s_waitcnt lgkmcnt(0)
	v_add_f64 v[6:7], v[6:7], v[32:33]
	ds_write_b64 v8, v[6:7]
	s_waitcnt lgkmcnt(0)
	s_barrier
	s_and_saveexec_b64 s[6:7], s[10:11]
	s_cbranch_execz .LBB6_28
; %bb.25:                               ;   in Loop: Header=BB6_4 Depth=1
	ds_read_b32 v1, v9
	ds_read_b32 v2, v20
	v_pk_mov_b32 v[4:5], 0, 0
	s_waitcnt lgkmcnt(0)
	v_cmp_eq_u32_e32 vcc, v1, v2
	s_and_saveexec_b64 s[36:37], vcc
	s_cbranch_execz .LBB6_27
; %bb.26:                               ;   in Loop: Header=BB6_4 Depth=1
	ds_read_b64 v[4:5], v21
.LBB6_27:                               ;   in Loop: Header=BB6_4 Depth=1
	s_or_b64 exec, exec, s[36:37]
.LBB6_28:                               ;   in Loop: Header=BB6_4 Depth=1
	;; [unrolled: 50-line block ×4, first 2 shown]
	s_or_b64 exec, exec, s[6:7]
	s_waitcnt lgkmcnt(0)
	s_barrier
	ds_read_b64 v[6:7], v8
	v_mov_b32_e32 v1, -1
	s_waitcnt lgkmcnt(0)
	v_add_f64 v[4:5], v[4:5], v[6:7]
	ds_write_b64 v8, v[4:5]
	s_waitcnt lgkmcnt(0)
	s_barrier
	ds_read_b32 v2, v9
	s_and_saveexec_b64 s[6:7], s[20:21]
	s_cbranch_execz .LBB6_46
; %bb.45:                               ;   in Loop: Header=BB6_4 Depth=1
	ds_read_b32 v1, v9 offset:4
.LBB6_46:                               ;   in Loop: Header=BB6_4 Depth=1
	s_or_b64 exec, exec, s[6:7]
	s_waitcnt lgkmcnt(0)
	v_cmp_ne_u32_e32 vcc, v2, v1
	v_cmp_lt_i32_e64 s[6:7], -1, v2
	s_and_b64 s[36:37], s[6:7], vcc
	s_and_saveexec_b64 s[6:7], s[36:37]
	s_cbranch_execz .LBB6_3
; %bb.47:                               ;   in Loop: Header=BB6_4 Depth=1
	s_and_b64 vcc, exec, s[34:35]
	s_cbranch_vccz .LBB6_49
; %bb.48:                               ;   in Loop: Header=BB6_4 Depth=1
	v_mad_u64_u32 v[4:5], s[36:37], v2, s30, 0
	v_mov_b32_e32 v6, v5
	v_mad_u64_u32 v[6:7], s[36:37], v2, s31, v[6:7]
	v_mov_b32_e32 v5, v6
	v_lshlrev_b64 v[4:5], 3, v[4:5]
	v_mov_b32_e32 v1, s40
	v_add_co_u32_e32 v4, vcc, s39, v4
	v_addc_co_u32_e32 v5, vcc, v1, v5, vcc
	s_cbranch_execnz .LBB6_2
	s_branch .LBB6_50
.LBB6_49:                               ;   in Loop: Header=BB6_4 Depth=1
                                        ; implicit-def: $vgpr4_vgpr5
.LBB6_50:                               ;   in Loop: Header=BB6_4 Depth=1
	v_lshlrev_b64 v[4:5], 3, v[2:3]
	v_mov_b32_e32 v1, s42
	v_add_co_u32_e32 v4, vcc, s41, v4
	v_addc_co_u32_e32 v5, vcc, v1, v5, vcc
	s_branch .LBB6_2
.LBB6_51:
	s_endpgm
	.section	.rodata,"a",@progbits
	.p2align	6, 0x0
	.amdhsa_kernel _ZN9rocsparseL28csrmmnn_general_block_reduceILj1024EiiddEEvT0_PKT1_PKT3_PT2_l16rocsparse_order_
		.amdhsa_group_segment_fixed_size 12288
		.amdhsa_private_segment_fixed_size 0
		.amdhsa_kernarg_size 44
		.amdhsa_user_sgpr_count 6
		.amdhsa_user_sgpr_private_segment_buffer 1
		.amdhsa_user_sgpr_dispatch_ptr 0
		.amdhsa_user_sgpr_queue_ptr 0
		.amdhsa_user_sgpr_kernarg_segment_ptr 1
		.amdhsa_user_sgpr_dispatch_id 0
		.amdhsa_user_sgpr_flat_scratch_init 0
		.amdhsa_user_sgpr_kernarg_preload_length 0
		.amdhsa_user_sgpr_kernarg_preload_offset 0
		.amdhsa_user_sgpr_private_segment_size 0
		.amdhsa_uses_dynamic_stack 0
		.amdhsa_system_sgpr_private_segment_wavefront_offset 0
		.amdhsa_system_sgpr_workgroup_id_x 1
		.amdhsa_system_sgpr_workgroup_id_y 0
		.amdhsa_system_sgpr_workgroup_id_z 0
		.amdhsa_system_sgpr_workgroup_info 0
		.amdhsa_system_vgpr_workitem_id 0
		.amdhsa_next_free_vgpr 34
		.amdhsa_next_free_sgpr 43
		.amdhsa_accum_offset 36
		.amdhsa_reserve_vcc 1
		.amdhsa_reserve_flat_scratch 0
		.amdhsa_float_round_mode_32 0
		.amdhsa_float_round_mode_16_64 0
		.amdhsa_float_denorm_mode_32 3
		.amdhsa_float_denorm_mode_16_64 3
		.amdhsa_dx10_clamp 1
		.amdhsa_ieee_mode 1
		.amdhsa_fp16_overflow 0
		.amdhsa_tg_split 0
		.amdhsa_exception_fp_ieee_invalid_op 0
		.amdhsa_exception_fp_denorm_src 0
		.amdhsa_exception_fp_ieee_div_zero 0
		.amdhsa_exception_fp_ieee_overflow 0
		.amdhsa_exception_fp_ieee_underflow 0
		.amdhsa_exception_fp_ieee_inexact 0
		.amdhsa_exception_int_div_zero 0
	.end_amdhsa_kernel
	.section	.text._ZN9rocsparseL28csrmmnn_general_block_reduceILj1024EiiddEEvT0_PKT1_PKT3_PT2_l16rocsparse_order_,"axG",@progbits,_ZN9rocsparseL28csrmmnn_general_block_reduceILj1024EiiddEEvT0_PKT1_PKT3_PT2_l16rocsparse_order_,comdat
.Lfunc_end6:
	.size	_ZN9rocsparseL28csrmmnn_general_block_reduceILj1024EiiddEEvT0_PKT1_PKT3_PT2_l16rocsparse_order_, .Lfunc_end6-_ZN9rocsparseL28csrmmnn_general_block_reduceILj1024EiiddEEvT0_PKT1_PKT3_PT2_l16rocsparse_order_
                                        ; -- End function
	.section	.AMDGPU.csdata,"",@progbits
; Kernel info:
; codeLenInByte = 1864
; NumSgprs: 47
; NumVgprs: 34
; NumAgprs: 0
; TotalNumVgprs: 34
; ScratchSize: 0
; MemoryBound: 0
; FloatMode: 240
; IeeeMode: 1
; LDSByteSize: 12288 bytes/workgroup (compile time only)
; SGPRBlocks: 5
; VGPRBlocks: 4
; NumSGPRsForWavesPerEU: 47
; NumVGPRsForWavesPerEU: 34
; AccumOffset: 36
; Occupancy: 8
; WaveLimiterHint : 0
; COMPUTE_PGM_RSRC2:SCRATCH_EN: 0
; COMPUTE_PGM_RSRC2:USER_SGPR: 6
; COMPUTE_PGM_RSRC2:TRAP_HANDLER: 0
; COMPUTE_PGM_RSRC2:TGID_X_EN: 1
; COMPUTE_PGM_RSRC2:TGID_Y_EN: 0
; COMPUTE_PGM_RSRC2:TGID_Z_EN: 0
; COMPUTE_PGM_RSRC2:TIDIG_COMP_CNT: 0
; COMPUTE_PGM_RSRC3_GFX90A:ACCUM_OFFSET: 8
; COMPUTE_PGM_RSRC3_GFX90A:TG_SPLIT: 0
	.section	.text._ZN9rocsparseL28csrmmnn_general_block_reduceILj1024EliddEEvT0_PKT1_PKT3_PT2_l16rocsparse_order_,"axG",@progbits,_ZN9rocsparseL28csrmmnn_general_block_reduceILj1024EliddEEvT0_PKT1_PKT3_PT2_l16rocsparse_order_,comdat
	.globl	_ZN9rocsparseL28csrmmnn_general_block_reduceILj1024EliddEEvT0_PKT1_PKT3_PT2_l16rocsparse_order_ ; -- Begin function _ZN9rocsparseL28csrmmnn_general_block_reduceILj1024EliddEEvT0_PKT1_PKT3_PT2_l16rocsparse_order_
	.p2align	8
	.type	_ZN9rocsparseL28csrmmnn_general_block_reduceILj1024EliddEEvT0_PKT1_PKT3_PT2_l16rocsparse_order_,@function
_ZN9rocsparseL28csrmmnn_general_block_reduceILj1024EliddEEvT0_PKT1_PKT3_PT2_l16rocsparse_order_: ; @_ZN9rocsparseL28csrmmnn_general_block_reduceILj1024EliddEEvT0_PKT1_PKT3_PT2_l16rocsparse_order_
; %bb.0:
	s_load_dwordx2 s[34:35], s[4:5], 0x0
	v_mov_b32_e32 v1, 0
	v_mov_b32_e32 v2, -1
	v_lshlrev_b32_e32 v10, 3, v0
	v_mov_b32_e32 v3, v2
	s_mov_b32 s7, 0
	v_mov_b32_e32 v4, v1
	v_mov_b32_e32 v5, v1
	s_waitcnt lgkmcnt(0)
	v_cmp_gt_i64_e32 vcc, s[34:35], v[0:1]
	ds_write2st64_b64 v10, v[2:3], v[4:5] offset1:16
	s_waitcnt lgkmcnt(0)
	s_barrier
	s_and_saveexec_b64 s[0:1], vcc
	s_cbranch_execz .LBB7_51
; %bb.1:
	s_load_dwordx8 s[24:31], s[4:5], 0x8
	s_load_dword s36, s[4:5], 0x28
	s_lshl_b64 s[2:3], s[6:7], 3
	s_movk_i32 s7, 0x7f
	v_cmp_lt_u32_e64 s[14:15], s7, v0
	s_movk_i32 s7, 0xff
	s_waitcnt lgkmcnt(0)
	s_add_u32 s33, s28, s2
	v_cmp_lt_u32_e64 s[16:17], s7, v0
	s_movk_i32 s7, 0x1ff
	s_addc_u32 s38, s29, s3
	v_cmp_lt_u32_e64 s[18:19], s7, v0
	s_movk_i32 s7, 0x3ff
	v_cmp_ne_u32_e64 s[20:21], s7, v0
	s_cmp_lg_u32 s36, 1
	s_mul_i32 s7, s6, s31
	s_mul_hi_u32 s39, s6, s30
	s_cselect_b64 s[36:37], -1, 0
	s_add_i32 s41, s39, s7
	s_mul_i32 s40, s6, s30
	s_lshl_b64 s[40:41], s[40:41], 3
	s_add_u32 s28, s28, s40
	s_mul_i32 s7, s35, s6
	s_mul_hi_u32 s39, s34, s6
	s_addc_u32 s29, s29, s41
	s_add_i32 s7, s39, s7
	s_mul_i32 s6, s34, s6
	s_lshl_b64 s[6:7], s[6:7], 3
	s_add_u32 s6, s26, s6
	v_lshlrev_b32_e32 v2, 3, v0
	s_addc_u32 s7, s27, s7
	v_mov_b32_e32 v3, s7
	v_add_co_u32_e32 v2, vcc, s6, v2
	v_addc_co_u32_e32 v3, vcc, 0, v3, vcc
	v_lshlrev_b32_e32 v4, 2, v0
	v_or_b32_e32 v11, 0x2000, v10
	v_mov_b32_e32 v5, s25
	v_add_co_u32_e32 v4, vcc, s24, v4
	v_cmp_ne_u32_e64 s[0:1], 0, v0
	v_add_u32_e32 v12, -8, v10
	v_add_u32_e32 v13, -8, v11
	v_cmp_lt_u32_e64 s[2:3], 1, v0
	v_add_u32_e32 v14, -16, v10
	v_add_u32_e32 v15, -16, v11
	v_cmp_lt_u32_e64 s[4:5], 3, v0
	v_subrev_u32_e32 v16, 32, v10
	v_subrev_u32_e32 v17, 32, v11
	v_cmp_lt_u32_e64 s[22:23], 7, v0
	v_subrev_u32_e32 v18, 64, v10
	v_subrev_u32_e32 v19, 64, v11
	v_cmp_lt_u32_e64 s[8:9], 15, v0
	v_add_u32_e32 v20, 0xffffff80, v10
	v_add_u32_e32 v21, 0xffffff80, v11
	v_cmp_lt_u32_e64 s[10:11], 31, v0
	v_add_u32_e32 v22, 0xffffff00, v10
	v_add_u32_e32 v23, 0xffffff00, v11
	;; [unrolled: 3-line block ×3, first 2 shown]
	v_add_u32_e32 v26, 0xfffffc00, v10
	v_add_u32_e32 v27, 0xfffffc00, v11
	v_add_u32_e32 v28, 0xfffff800, v10
	v_add_u32_e32 v29, 0xfffff800, v11
	v_add_u32_e32 v30, 0xfffff000, v10
	v_add_u32_e32 v31, 0xfffff000, v11
	v_addc_co_u32_e32 v5, vcc, 0, v5, vcc
	s_mov_b64 s[24:25], 0
	s_branch .LBB7_4
.LBB7_2:                                ;   in Loop: Header=BB7_4 Depth=1
	global_load_dwordx2 v[6:7], v[8:9], off
	ds_read_b64 v[32:33], v11
	s_waitcnt vmcnt(0) lgkmcnt(0)
	v_add_f64 v[6:7], v[6:7], v[32:33]
	global_store_dwordx2 v[8:9], v[6:7], off
.LBB7_3:                                ;   in Loop: Header=BB7_4 Depth=1
	s_or_b64 exec, exec, s[6:7]
	v_add_co_u32_e32 v0, vcc, 0x400, v0
	v_addc_co_u32_e32 v1, vcc, 0, v1, vcc
	v_add_co_u32_e32 v2, vcc, 0x2000, v2
	v_addc_co_u32_e32 v3, vcc, 0, v3, vcc
	v_add_co_u32_e32 v4, vcc, 0x1000, v4
	v_cmp_le_i64_e64 s[6:7], s[34:35], v[0:1]
	s_or_b64 s[24:25], s[6:7], s[24:25]
	v_addc_co_u32_e32 v5, vcc, 0, v5, vcc
	s_barrier
	s_andn2_b64 exec, exec, s[24:25]
	s_cbranch_execz .LBB7_51
.LBB7_4:                                ; =>This Inner Loop Header: Depth=1
	global_load_dword v8, v[4:5], off
	global_load_dwordx2 v[32:33], v[2:3], off
	v_pk_mov_b32 v[6:7], 0, 0
	s_waitcnt vmcnt(1)
	v_ashrrev_i32_e32 v9, 31, v8
	s_waitcnt vmcnt(0)
	ds_write_b64 v11, v[32:33]
	ds_write_b64 v10, v[8:9]
	v_pk_mov_b32 v[8:9], v[6:7], v[6:7] op_sel:[0,1]
	s_waitcnt lgkmcnt(0)
	s_barrier
	s_and_saveexec_b64 s[6:7], s[0:1]
	s_cbranch_execz .LBB7_8
; %bb.5:                                ;   in Loop: Header=BB7_4 Depth=1
	ds_read2_b64 v[32:35], v12 offset1:1
	v_pk_mov_b32 v[8:9], 0, 0
	s_waitcnt lgkmcnt(0)
	v_cmp_eq_u64_e32 vcc, v[34:35], v[32:33]
	s_and_saveexec_b64 s[26:27], vcc
	s_cbranch_execz .LBB7_7
; %bb.6:                                ;   in Loop: Header=BB7_4 Depth=1
	ds_read_b64 v[8:9], v13
.LBB7_7:                                ;   in Loop: Header=BB7_4 Depth=1
	s_or_b64 exec, exec, s[26:27]
.LBB7_8:                                ;   in Loop: Header=BB7_4 Depth=1
	s_or_b64 exec, exec, s[6:7]
	s_waitcnt lgkmcnt(0)
	s_barrier
	ds_read_b64 v[32:33], v11
	s_waitcnt lgkmcnt(0)
	v_add_f64 v[8:9], v[8:9], v[32:33]
	ds_write_b64 v11, v[8:9]
	s_waitcnt lgkmcnt(0)
	s_barrier
	s_and_saveexec_b64 s[6:7], s[2:3]
	s_cbranch_execz .LBB7_12
; %bb.9:                                ;   in Loop: Header=BB7_4 Depth=1
	ds_read_b64 v[6:7], v10
	ds_read_b64 v[8:9], v14
	s_waitcnt lgkmcnt(0)
	v_cmp_eq_u64_e32 vcc, v[6:7], v[8:9]
	v_pk_mov_b32 v[6:7], 0, 0
	s_and_saveexec_b64 s[26:27], vcc
	s_cbranch_execz .LBB7_11
; %bb.10:                               ;   in Loop: Header=BB7_4 Depth=1
	ds_read_b64 v[6:7], v15
.LBB7_11:                               ;   in Loop: Header=BB7_4 Depth=1
	s_or_b64 exec, exec, s[26:27]
.LBB7_12:                               ;   in Loop: Header=BB7_4 Depth=1
	s_or_b64 exec, exec, s[6:7]
	s_waitcnt lgkmcnt(0)
	s_barrier
	ds_read_b64 v[8:9], v11
	s_waitcnt lgkmcnt(0)
	v_add_f64 v[6:7], v[6:7], v[8:9]
	ds_write_b64 v11, v[6:7]
	v_pk_mov_b32 v[6:7], 0, 0
	v_pk_mov_b32 v[8:9], v[6:7], v[6:7] op_sel:[0,1]
	s_waitcnt lgkmcnt(0)
	s_barrier
	s_and_saveexec_b64 s[6:7], s[4:5]
	s_cbranch_execz .LBB7_16
; %bb.13:                               ;   in Loop: Header=BB7_4 Depth=1
	ds_read_b64 v[8:9], v10
	ds_read_b64 v[32:33], v16
	s_waitcnt lgkmcnt(0)
	v_cmp_eq_u64_e32 vcc, v[8:9], v[32:33]
	v_pk_mov_b32 v[8:9], 0, 0
	s_and_saveexec_b64 s[26:27], vcc
	s_cbranch_execz .LBB7_15
; %bb.14:                               ;   in Loop: Header=BB7_4 Depth=1
	ds_read_b64 v[8:9], v17
.LBB7_15:                               ;   in Loop: Header=BB7_4 Depth=1
	s_or_b64 exec, exec, s[26:27]
.LBB7_16:                               ;   in Loop: Header=BB7_4 Depth=1
	s_or_b64 exec, exec, s[6:7]
	s_waitcnt lgkmcnt(0)
	s_barrier
	ds_read_b64 v[32:33], v11
	s_waitcnt lgkmcnt(0)
	v_add_f64 v[8:9], v[8:9], v[32:33]
	ds_write_b64 v11, v[8:9]
	s_waitcnt lgkmcnt(0)
	s_barrier
	s_and_saveexec_b64 s[6:7], s[22:23]
	s_cbranch_execz .LBB7_20
; %bb.17:                               ;   in Loop: Header=BB7_4 Depth=1
	ds_read_b64 v[6:7], v10
	ds_read_b64 v[8:9], v18
	s_waitcnt lgkmcnt(0)
	v_cmp_eq_u64_e32 vcc, v[6:7], v[8:9]
	v_pk_mov_b32 v[6:7], 0, 0
	s_and_saveexec_b64 s[26:27], vcc
	s_cbranch_execz .LBB7_19
; %bb.18:                               ;   in Loop: Header=BB7_4 Depth=1
	ds_read_b64 v[6:7], v19
.LBB7_19:                               ;   in Loop: Header=BB7_4 Depth=1
	s_or_b64 exec, exec, s[26:27]
.LBB7_20:                               ;   in Loop: Header=BB7_4 Depth=1
	s_or_b64 exec, exec, s[6:7]
	s_waitcnt lgkmcnt(0)
	s_barrier
	ds_read_b64 v[8:9], v11
	s_waitcnt lgkmcnt(0)
	v_add_f64 v[6:7], v[6:7], v[8:9]
	ds_write_b64 v11, v[6:7]
	v_pk_mov_b32 v[6:7], 0, 0
	v_pk_mov_b32 v[8:9], v[6:7], v[6:7] op_sel:[0,1]
	s_waitcnt lgkmcnt(0)
	s_barrier
	s_and_saveexec_b64 s[6:7], s[8:9]
	s_cbranch_execz .LBB7_24
; %bb.21:                               ;   in Loop: Header=BB7_4 Depth=1
	ds_read_b64 v[8:9], v10
	ds_read_b64 v[32:33], v20
	s_waitcnt lgkmcnt(0)
	v_cmp_eq_u64_e32 vcc, v[8:9], v[32:33]
	v_pk_mov_b32 v[8:9], 0, 0
	s_and_saveexec_b64 s[26:27], vcc
	s_cbranch_execz .LBB7_23
; %bb.22:                               ;   in Loop: Header=BB7_4 Depth=1
	ds_read_b64 v[8:9], v21
.LBB7_23:                               ;   in Loop: Header=BB7_4 Depth=1
	s_or_b64 exec, exec, s[26:27]
.LBB7_24:                               ;   in Loop: Header=BB7_4 Depth=1
	s_or_b64 exec, exec, s[6:7]
	s_waitcnt lgkmcnt(0)
	s_barrier
	ds_read_b64 v[32:33], v11
	s_waitcnt lgkmcnt(0)
	v_add_f64 v[8:9], v[8:9], v[32:33]
	ds_write_b64 v11, v[8:9]
	s_waitcnt lgkmcnt(0)
	s_barrier
	s_and_saveexec_b64 s[6:7], s[10:11]
	s_cbranch_execz .LBB7_28
; %bb.25:                               ;   in Loop: Header=BB7_4 Depth=1
	ds_read_b64 v[6:7], v10
	ds_read_b64 v[8:9], v22
	s_waitcnt lgkmcnt(0)
	v_cmp_eq_u64_e32 vcc, v[6:7], v[8:9]
	v_pk_mov_b32 v[6:7], 0, 0
	s_and_saveexec_b64 s[26:27], vcc
	s_cbranch_execz .LBB7_27
; %bb.26:                               ;   in Loop: Header=BB7_4 Depth=1
	ds_read_b64 v[6:7], v23
.LBB7_27:                               ;   in Loop: Header=BB7_4 Depth=1
	s_or_b64 exec, exec, s[26:27]
.LBB7_28:                               ;   in Loop: Header=BB7_4 Depth=1
	;; [unrolled: 50-line block ×4, first 2 shown]
	s_or_b64 exec, exec, s[6:7]
	s_waitcnt lgkmcnt(0)
	s_barrier
	ds_read_b64 v[8:9], v11
	s_waitcnt lgkmcnt(0)
	v_add_f64 v[6:7], v[6:7], v[8:9]
	ds_write_b64 v11, v[6:7]
	s_waitcnt lgkmcnt(0)
	s_barrier
	ds_read_b64 v[6:7], v10
	v_pk_mov_b32 v[8:9], -1, -1
	s_and_saveexec_b64 s[6:7], s[20:21]
	s_cbranch_execz .LBB7_46
; %bb.45:                               ;   in Loop: Header=BB7_4 Depth=1
	ds_read_b64 v[8:9], v10 offset:8
.LBB7_46:                               ;   in Loop: Header=BB7_4 Depth=1
	s_or_b64 exec, exec, s[6:7]
	s_waitcnt lgkmcnt(0)
	v_cmp_ne_u64_e32 vcc, v[6:7], v[8:9]
	v_cmp_lt_i64_e64 s[6:7], -1, v[6:7]
	s_and_b64 s[26:27], s[6:7], vcc
	s_and_saveexec_b64 s[6:7], s[26:27]
	s_cbranch_execz .LBB7_3
; %bb.47:                               ;   in Loop: Header=BB7_4 Depth=1
	s_and_b64 vcc, exec, s[36:37]
	s_cbranch_vccz .LBB7_49
; %bb.48:                               ;   in Loop: Header=BB7_4 Depth=1
	v_mul_lo_u32 v32, v7, s30
	v_mul_lo_u32 v33, v6, s31
	v_mad_u64_u32 v[8:9], s[26:27], v6, s30, 0
	v_add3_u32 v9, v9, v33, v32
	v_lshlrev_b64 v[8:9], 3, v[8:9]
	v_mov_b32_e32 v32, s38
	v_add_co_u32_e32 v8, vcc, s33, v8
	v_addc_co_u32_e32 v9, vcc, v32, v9, vcc
	s_cbranch_execnz .LBB7_2
	s_branch .LBB7_50
.LBB7_49:                               ;   in Loop: Header=BB7_4 Depth=1
                                        ; implicit-def: $vgpr8_vgpr9
.LBB7_50:                               ;   in Loop: Header=BB7_4 Depth=1
	v_lshlrev_b64 v[6:7], 3, v[6:7]
	v_mov_b32_e32 v9, s29
	v_add_co_u32_e32 v8, vcc, s28, v6
	v_addc_co_u32_e32 v9, vcc, v9, v7, vcc
	s_branch .LBB7_2
.LBB7_51:
	s_endpgm
	.section	.rodata,"a",@progbits
	.p2align	6, 0x0
	.amdhsa_kernel _ZN9rocsparseL28csrmmnn_general_block_reduceILj1024EliddEEvT0_PKT1_PKT3_PT2_l16rocsparse_order_
		.amdhsa_group_segment_fixed_size 16384
		.amdhsa_private_segment_fixed_size 0
		.amdhsa_kernarg_size 44
		.amdhsa_user_sgpr_count 6
		.amdhsa_user_sgpr_private_segment_buffer 1
		.amdhsa_user_sgpr_dispatch_ptr 0
		.amdhsa_user_sgpr_queue_ptr 0
		.amdhsa_user_sgpr_kernarg_segment_ptr 1
		.amdhsa_user_sgpr_dispatch_id 0
		.amdhsa_user_sgpr_flat_scratch_init 0
		.amdhsa_user_sgpr_kernarg_preload_length 0
		.amdhsa_user_sgpr_kernarg_preload_offset 0
		.amdhsa_user_sgpr_private_segment_size 0
		.amdhsa_uses_dynamic_stack 0
		.amdhsa_system_sgpr_private_segment_wavefront_offset 0
		.amdhsa_system_sgpr_workgroup_id_x 1
		.amdhsa_system_sgpr_workgroup_id_y 0
		.amdhsa_system_sgpr_workgroup_id_z 0
		.amdhsa_system_sgpr_workgroup_info 0
		.amdhsa_system_vgpr_workitem_id 0
		.amdhsa_next_free_vgpr 36
		.amdhsa_next_free_sgpr 42
		.amdhsa_accum_offset 36
		.amdhsa_reserve_vcc 1
		.amdhsa_reserve_flat_scratch 0
		.amdhsa_float_round_mode_32 0
		.amdhsa_float_round_mode_16_64 0
		.amdhsa_float_denorm_mode_32 3
		.amdhsa_float_denorm_mode_16_64 3
		.amdhsa_dx10_clamp 1
		.amdhsa_ieee_mode 1
		.amdhsa_fp16_overflow 0
		.amdhsa_tg_split 0
		.amdhsa_exception_fp_ieee_invalid_op 0
		.amdhsa_exception_fp_denorm_src 0
		.amdhsa_exception_fp_ieee_div_zero 0
		.amdhsa_exception_fp_ieee_overflow 0
		.amdhsa_exception_fp_ieee_underflow 0
		.amdhsa_exception_fp_ieee_inexact 0
		.amdhsa_exception_int_div_zero 0
	.end_amdhsa_kernel
	.section	.text._ZN9rocsparseL28csrmmnn_general_block_reduceILj1024EliddEEvT0_PKT1_PKT3_PT2_l16rocsparse_order_,"axG",@progbits,_ZN9rocsparseL28csrmmnn_general_block_reduceILj1024EliddEEvT0_PKT1_PKT3_PT2_l16rocsparse_order_,comdat
.Lfunc_end7:
	.size	_ZN9rocsparseL28csrmmnn_general_block_reduceILj1024EliddEEvT0_PKT1_PKT3_PT2_l16rocsparse_order_, .Lfunc_end7-_ZN9rocsparseL28csrmmnn_general_block_reduceILj1024EliddEEvT0_PKT1_PKT3_PT2_l16rocsparse_order_
                                        ; -- End function
	.section	.AMDGPU.csdata,"",@progbits
; Kernel info:
; codeLenInByte = 1908
; NumSgprs: 46
; NumVgprs: 36
; NumAgprs: 0
; TotalNumVgprs: 36
; ScratchSize: 0
; MemoryBound: 0
; FloatMode: 240
; IeeeMode: 1
; LDSByteSize: 16384 bytes/workgroup (compile time only)
; SGPRBlocks: 5
; VGPRBlocks: 4
; NumSGPRsForWavesPerEU: 46
; NumVGPRsForWavesPerEU: 36
; AccumOffset: 36
; Occupancy: 8
; WaveLimiterHint : 0
; COMPUTE_PGM_RSRC2:SCRATCH_EN: 0
; COMPUTE_PGM_RSRC2:USER_SGPR: 6
; COMPUTE_PGM_RSRC2:TRAP_HANDLER: 0
; COMPUTE_PGM_RSRC2:TGID_X_EN: 1
; COMPUTE_PGM_RSRC2:TGID_Y_EN: 0
; COMPUTE_PGM_RSRC2:TGID_Z_EN: 0
; COMPUTE_PGM_RSRC2:TIDIG_COMP_CNT: 0
; COMPUTE_PGM_RSRC3_GFX90A:ACCUM_OFFSET: 8
; COMPUTE_PGM_RSRC3_GFX90A:TG_SPLIT: 0
	.section	.text._ZN9rocsparseL28csrmmnn_general_block_reduceILj1024EllddEEvT0_PKT1_PKT3_PT2_l16rocsparse_order_,"axG",@progbits,_ZN9rocsparseL28csrmmnn_general_block_reduceILj1024EllddEEvT0_PKT1_PKT3_PT2_l16rocsparse_order_,comdat
	.globl	_ZN9rocsparseL28csrmmnn_general_block_reduceILj1024EllddEEvT0_PKT1_PKT3_PT2_l16rocsparse_order_ ; -- Begin function _ZN9rocsparseL28csrmmnn_general_block_reduceILj1024EllddEEvT0_PKT1_PKT3_PT2_l16rocsparse_order_
	.p2align	8
	.type	_ZN9rocsparseL28csrmmnn_general_block_reduceILj1024EllddEEvT0_PKT1_PKT3_PT2_l16rocsparse_order_,@function
_ZN9rocsparseL28csrmmnn_general_block_reduceILj1024EllddEEvT0_PKT1_PKT3_PT2_l16rocsparse_order_: ; @_ZN9rocsparseL28csrmmnn_general_block_reduceILj1024EllddEEvT0_PKT1_PKT3_PT2_l16rocsparse_order_
; %bb.0:
	s_load_dwordx2 s[34:35], s[4:5], 0x0
	v_mov_b32_e32 v1, 0
	v_mov_b32_e32 v2, -1
	v_lshlrev_b32_e32 v10, 3, v0
	v_mov_b32_e32 v3, v2
	s_mov_b32 s7, 0
	v_mov_b32_e32 v4, v1
	v_mov_b32_e32 v5, v1
	s_waitcnt lgkmcnt(0)
	v_cmp_gt_i64_e32 vcc, s[34:35], v[0:1]
	ds_write2st64_b64 v10, v[2:3], v[4:5] offset1:16
	s_waitcnt lgkmcnt(0)
	s_barrier
	s_and_saveexec_b64 s[0:1], vcc
	s_cbranch_execz .LBB8_51
; %bb.1:
	s_load_dwordx8 s[24:31], s[4:5], 0x8
	s_load_dword s36, s[4:5], 0x28
	s_lshl_b64 s[2:3], s[6:7], 3
	s_movk_i32 s7, 0x7f
	v_cmp_lt_u32_e64 s[14:15], s7, v0
	s_movk_i32 s7, 0xff
	s_waitcnt lgkmcnt(0)
	s_add_u32 s33, s28, s2
	v_cmp_lt_u32_e64 s[16:17], s7, v0
	s_movk_i32 s7, 0x1ff
	s_addc_u32 s38, s29, s3
	v_cmp_lt_u32_e64 s[18:19], s7, v0
	s_movk_i32 s7, 0x3ff
	v_cmp_ne_u32_e64 s[20:21], s7, v0
	s_cmp_lg_u32 s36, 1
	s_mul_i32 s7, s6, s31
	s_mul_hi_u32 s39, s6, s30
	s_cselect_b64 s[36:37], -1, 0
	s_add_i32 s41, s39, s7
	s_mul_i32 s40, s6, s30
	s_lshl_b64 s[40:41], s[40:41], 3
	s_add_u32 s28, s28, s40
	s_mul_i32 s7, s35, s6
	s_mul_hi_u32 s39, s34, s6
	s_addc_u32 s29, s29, s41
	s_add_i32 s7, s39, s7
	s_mul_i32 s6, s34, s6
	s_lshl_b64 s[6:7], s[6:7], 3
	s_add_u32 s6, s26, s6
	v_lshlrev_b32_e32 v4, 3, v0
	s_addc_u32 s7, s27, s7
	v_mov_b32_e32 v3, s7
	v_add_co_u32_e32 v2, vcc, s6, v4
	v_addc_co_u32_e32 v3, vcc, 0, v3, vcc
	v_or_b32_e32 v11, 0x2000, v10
	v_mov_b32_e32 v5, s25
	v_add_co_u32_e32 v4, vcc, s24, v4
	v_cmp_ne_u32_e64 s[0:1], 0, v0
	v_add_u32_e32 v12, -8, v10
	v_add_u32_e32 v13, -8, v11
	v_cmp_lt_u32_e64 s[2:3], 1, v0
	v_add_u32_e32 v14, -16, v10
	v_add_u32_e32 v15, -16, v11
	v_cmp_lt_u32_e64 s[4:5], 3, v0
	v_subrev_u32_e32 v16, 32, v10
	v_subrev_u32_e32 v17, 32, v11
	v_cmp_lt_u32_e64 s[22:23], 7, v0
	v_subrev_u32_e32 v18, 64, v10
	v_subrev_u32_e32 v19, 64, v11
	v_cmp_lt_u32_e64 s[8:9], 15, v0
	v_add_u32_e32 v20, 0xffffff80, v10
	v_add_u32_e32 v21, 0xffffff80, v11
	v_cmp_lt_u32_e64 s[10:11], 31, v0
	v_add_u32_e32 v22, 0xffffff00, v10
	v_add_u32_e32 v23, 0xffffff00, v11
	;; [unrolled: 3-line block ×3, first 2 shown]
	v_add_u32_e32 v26, 0xfffffc00, v10
	v_add_u32_e32 v27, 0xfffffc00, v11
	;; [unrolled: 1-line block ×6, first 2 shown]
	v_addc_co_u32_e32 v5, vcc, 0, v5, vcc
	s_mov_b64 s[24:25], 0
	s_branch .LBB8_4
.LBB8_2:                                ;   in Loop: Header=BB8_4 Depth=1
	global_load_dwordx2 v[6:7], v[8:9], off
	ds_read_b64 v[32:33], v11
	s_waitcnt vmcnt(0) lgkmcnt(0)
	v_add_f64 v[6:7], v[6:7], v[32:33]
	global_store_dwordx2 v[8:9], v[6:7], off
.LBB8_3:                                ;   in Loop: Header=BB8_4 Depth=1
	s_or_b64 exec, exec, s[6:7]
	v_add_co_u32_e32 v0, vcc, 0x400, v0
	v_addc_co_u32_e32 v1, vcc, 0, v1, vcc
	v_add_co_u32_e32 v2, vcc, 0x2000, v2
	v_addc_co_u32_e32 v3, vcc, 0, v3, vcc
	v_add_co_u32_e32 v4, vcc, 0x2000, v4
	v_cmp_le_i64_e64 s[6:7], s[34:35], v[0:1]
	s_or_b64 s[24:25], s[6:7], s[24:25]
	v_addc_co_u32_e32 v5, vcc, 0, v5, vcc
	s_barrier
	s_andn2_b64 exec, exec, s[24:25]
	s_cbranch_execz .LBB8_51
.LBB8_4:                                ; =>This Inner Loop Header: Depth=1
	global_load_dwordx2 v[8:9], v[4:5], off
	global_load_dwordx2 v[32:33], v[2:3], off
	v_pk_mov_b32 v[6:7], 0, 0
	s_waitcnt vmcnt(1)
	ds_write_b64 v10, v[8:9]
	s_waitcnt vmcnt(0)
	ds_write_b64 v11, v[32:33]
	v_pk_mov_b32 v[8:9], v[6:7], v[6:7] op_sel:[0,1]
	s_waitcnt lgkmcnt(0)
	s_barrier
	s_and_saveexec_b64 s[6:7], s[0:1]
	s_cbranch_execz .LBB8_8
; %bb.5:                                ;   in Loop: Header=BB8_4 Depth=1
	ds_read2_b64 v[32:35], v12 offset1:1
	v_pk_mov_b32 v[8:9], 0, 0
	s_waitcnt lgkmcnt(0)
	v_cmp_eq_u64_e32 vcc, v[34:35], v[32:33]
	s_and_saveexec_b64 s[26:27], vcc
	s_cbranch_execz .LBB8_7
; %bb.6:                                ;   in Loop: Header=BB8_4 Depth=1
	ds_read_b64 v[8:9], v13
.LBB8_7:                                ;   in Loop: Header=BB8_4 Depth=1
	s_or_b64 exec, exec, s[26:27]
.LBB8_8:                                ;   in Loop: Header=BB8_4 Depth=1
	s_or_b64 exec, exec, s[6:7]
	s_waitcnt lgkmcnt(0)
	s_barrier
	ds_read_b64 v[32:33], v11
	s_waitcnt lgkmcnt(0)
	v_add_f64 v[8:9], v[8:9], v[32:33]
	ds_write_b64 v11, v[8:9]
	s_waitcnt lgkmcnt(0)
	s_barrier
	s_and_saveexec_b64 s[6:7], s[2:3]
	s_cbranch_execz .LBB8_12
; %bb.9:                                ;   in Loop: Header=BB8_4 Depth=1
	ds_read_b64 v[6:7], v10
	ds_read_b64 v[8:9], v14
	s_waitcnt lgkmcnt(0)
	v_cmp_eq_u64_e32 vcc, v[6:7], v[8:9]
	v_pk_mov_b32 v[6:7], 0, 0
	s_and_saveexec_b64 s[26:27], vcc
	s_cbranch_execz .LBB8_11
; %bb.10:                               ;   in Loop: Header=BB8_4 Depth=1
	ds_read_b64 v[6:7], v15
.LBB8_11:                               ;   in Loop: Header=BB8_4 Depth=1
	s_or_b64 exec, exec, s[26:27]
.LBB8_12:                               ;   in Loop: Header=BB8_4 Depth=1
	s_or_b64 exec, exec, s[6:7]
	s_waitcnt lgkmcnt(0)
	s_barrier
	ds_read_b64 v[8:9], v11
	s_waitcnt lgkmcnt(0)
	v_add_f64 v[6:7], v[6:7], v[8:9]
	ds_write_b64 v11, v[6:7]
	v_pk_mov_b32 v[6:7], 0, 0
	v_pk_mov_b32 v[8:9], v[6:7], v[6:7] op_sel:[0,1]
	s_waitcnt lgkmcnt(0)
	s_barrier
	s_and_saveexec_b64 s[6:7], s[4:5]
	s_cbranch_execz .LBB8_16
; %bb.13:                               ;   in Loop: Header=BB8_4 Depth=1
	ds_read_b64 v[8:9], v10
	ds_read_b64 v[32:33], v16
	s_waitcnt lgkmcnt(0)
	v_cmp_eq_u64_e32 vcc, v[8:9], v[32:33]
	v_pk_mov_b32 v[8:9], 0, 0
	s_and_saveexec_b64 s[26:27], vcc
	s_cbranch_execz .LBB8_15
; %bb.14:                               ;   in Loop: Header=BB8_4 Depth=1
	ds_read_b64 v[8:9], v17
.LBB8_15:                               ;   in Loop: Header=BB8_4 Depth=1
	s_or_b64 exec, exec, s[26:27]
.LBB8_16:                               ;   in Loop: Header=BB8_4 Depth=1
	s_or_b64 exec, exec, s[6:7]
	s_waitcnt lgkmcnt(0)
	s_barrier
	ds_read_b64 v[32:33], v11
	s_waitcnt lgkmcnt(0)
	v_add_f64 v[8:9], v[8:9], v[32:33]
	ds_write_b64 v11, v[8:9]
	s_waitcnt lgkmcnt(0)
	s_barrier
	s_and_saveexec_b64 s[6:7], s[22:23]
	s_cbranch_execz .LBB8_20
; %bb.17:                               ;   in Loop: Header=BB8_4 Depth=1
	ds_read_b64 v[6:7], v10
	ds_read_b64 v[8:9], v18
	s_waitcnt lgkmcnt(0)
	v_cmp_eq_u64_e32 vcc, v[6:7], v[8:9]
	v_pk_mov_b32 v[6:7], 0, 0
	s_and_saveexec_b64 s[26:27], vcc
	s_cbranch_execz .LBB8_19
; %bb.18:                               ;   in Loop: Header=BB8_4 Depth=1
	ds_read_b64 v[6:7], v19
.LBB8_19:                               ;   in Loop: Header=BB8_4 Depth=1
	s_or_b64 exec, exec, s[26:27]
.LBB8_20:                               ;   in Loop: Header=BB8_4 Depth=1
	s_or_b64 exec, exec, s[6:7]
	s_waitcnt lgkmcnt(0)
	s_barrier
	ds_read_b64 v[8:9], v11
	s_waitcnt lgkmcnt(0)
	v_add_f64 v[6:7], v[6:7], v[8:9]
	ds_write_b64 v11, v[6:7]
	v_pk_mov_b32 v[6:7], 0, 0
	v_pk_mov_b32 v[8:9], v[6:7], v[6:7] op_sel:[0,1]
	s_waitcnt lgkmcnt(0)
	s_barrier
	s_and_saveexec_b64 s[6:7], s[8:9]
	s_cbranch_execz .LBB8_24
; %bb.21:                               ;   in Loop: Header=BB8_4 Depth=1
	ds_read_b64 v[8:9], v10
	ds_read_b64 v[32:33], v20
	s_waitcnt lgkmcnt(0)
	v_cmp_eq_u64_e32 vcc, v[8:9], v[32:33]
	v_pk_mov_b32 v[8:9], 0, 0
	s_and_saveexec_b64 s[26:27], vcc
	s_cbranch_execz .LBB8_23
; %bb.22:                               ;   in Loop: Header=BB8_4 Depth=1
	ds_read_b64 v[8:9], v21
.LBB8_23:                               ;   in Loop: Header=BB8_4 Depth=1
	s_or_b64 exec, exec, s[26:27]
.LBB8_24:                               ;   in Loop: Header=BB8_4 Depth=1
	s_or_b64 exec, exec, s[6:7]
	s_waitcnt lgkmcnt(0)
	s_barrier
	ds_read_b64 v[32:33], v11
	s_waitcnt lgkmcnt(0)
	v_add_f64 v[8:9], v[8:9], v[32:33]
	ds_write_b64 v11, v[8:9]
	s_waitcnt lgkmcnt(0)
	s_barrier
	s_and_saveexec_b64 s[6:7], s[10:11]
	s_cbranch_execz .LBB8_28
; %bb.25:                               ;   in Loop: Header=BB8_4 Depth=1
	ds_read_b64 v[6:7], v10
	ds_read_b64 v[8:9], v22
	s_waitcnt lgkmcnt(0)
	v_cmp_eq_u64_e32 vcc, v[6:7], v[8:9]
	v_pk_mov_b32 v[6:7], 0, 0
	s_and_saveexec_b64 s[26:27], vcc
	s_cbranch_execz .LBB8_27
; %bb.26:                               ;   in Loop: Header=BB8_4 Depth=1
	ds_read_b64 v[6:7], v23
.LBB8_27:                               ;   in Loop: Header=BB8_4 Depth=1
	s_or_b64 exec, exec, s[26:27]
.LBB8_28:                               ;   in Loop: Header=BB8_4 Depth=1
	;; [unrolled: 50-line block ×4, first 2 shown]
	s_or_b64 exec, exec, s[6:7]
	s_waitcnt lgkmcnt(0)
	s_barrier
	ds_read_b64 v[8:9], v11
	s_waitcnt lgkmcnt(0)
	v_add_f64 v[6:7], v[6:7], v[8:9]
	ds_write_b64 v11, v[6:7]
	s_waitcnt lgkmcnt(0)
	s_barrier
	ds_read_b64 v[6:7], v10
	v_pk_mov_b32 v[8:9], -1, -1
	s_and_saveexec_b64 s[6:7], s[20:21]
	s_cbranch_execz .LBB8_46
; %bb.45:                               ;   in Loop: Header=BB8_4 Depth=1
	ds_read_b64 v[8:9], v10 offset:8
.LBB8_46:                               ;   in Loop: Header=BB8_4 Depth=1
	s_or_b64 exec, exec, s[6:7]
	s_waitcnt lgkmcnt(0)
	v_cmp_ne_u64_e32 vcc, v[6:7], v[8:9]
	v_cmp_lt_i64_e64 s[6:7], -1, v[6:7]
	s_and_b64 s[26:27], s[6:7], vcc
	s_and_saveexec_b64 s[6:7], s[26:27]
	s_cbranch_execz .LBB8_3
; %bb.47:                               ;   in Loop: Header=BB8_4 Depth=1
	s_and_b64 vcc, exec, s[36:37]
	s_cbranch_vccz .LBB8_49
; %bb.48:                               ;   in Loop: Header=BB8_4 Depth=1
	v_mul_lo_u32 v32, v7, s30
	v_mul_lo_u32 v33, v6, s31
	v_mad_u64_u32 v[8:9], s[26:27], v6, s30, 0
	v_add3_u32 v9, v9, v33, v32
	v_lshlrev_b64 v[8:9], 3, v[8:9]
	v_mov_b32_e32 v32, s38
	v_add_co_u32_e32 v8, vcc, s33, v8
	v_addc_co_u32_e32 v9, vcc, v32, v9, vcc
	s_cbranch_execnz .LBB8_2
	s_branch .LBB8_50
.LBB8_49:                               ;   in Loop: Header=BB8_4 Depth=1
                                        ; implicit-def: $vgpr8_vgpr9
.LBB8_50:                               ;   in Loop: Header=BB8_4 Depth=1
	v_lshlrev_b64 v[6:7], 3, v[6:7]
	v_mov_b32_e32 v9, s29
	v_add_co_u32_e32 v8, vcc, s28, v6
	v_addc_co_u32_e32 v9, vcc, v9, v7, vcc
	s_branch .LBB8_2
.LBB8_51:
	s_endpgm
	.section	.rodata,"a",@progbits
	.p2align	6, 0x0
	.amdhsa_kernel _ZN9rocsparseL28csrmmnn_general_block_reduceILj1024EllddEEvT0_PKT1_PKT3_PT2_l16rocsparse_order_
		.amdhsa_group_segment_fixed_size 16384
		.amdhsa_private_segment_fixed_size 0
		.amdhsa_kernarg_size 44
		.amdhsa_user_sgpr_count 6
		.amdhsa_user_sgpr_private_segment_buffer 1
		.amdhsa_user_sgpr_dispatch_ptr 0
		.amdhsa_user_sgpr_queue_ptr 0
		.amdhsa_user_sgpr_kernarg_segment_ptr 1
		.amdhsa_user_sgpr_dispatch_id 0
		.amdhsa_user_sgpr_flat_scratch_init 0
		.amdhsa_user_sgpr_kernarg_preload_length 0
		.amdhsa_user_sgpr_kernarg_preload_offset 0
		.amdhsa_user_sgpr_private_segment_size 0
		.amdhsa_uses_dynamic_stack 0
		.amdhsa_system_sgpr_private_segment_wavefront_offset 0
		.amdhsa_system_sgpr_workgroup_id_x 1
		.amdhsa_system_sgpr_workgroup_id_y 0
		.amdhsa_system_sgpr_workgroup_id_z 0
		.amdhsa_system_sgpr_workgroup_info 0
		.amdhsa_system_vgpr_workitem_id 0
		.amdhsa_next_free_vgpr 36
		.amdhsa_next_free_sgpr 42
		.amdhsa_accum_offset 36
		.amdhsa_reserve_vcc 1
		.amdhsa_reserve_flat_scratch 0
		.amdhsa_float_round_mode_32 0
		.amdhsa_float_round_mode_16_64 0
		.amdhsa_float_denorm_mode_32 3
		.amdhsa_float_denorm_mode_16_64 3
		.amdhsa_dx10_clamp 1
		.amdhsa_ieee_mode 1
		.amdhsa_fp16_overflow 0
		.amdhsa_tg_split 0
		.amdhsa_exception_fp_ieee_invalid_op 0
		.amdhsa_exception_fp_denorm_src 0
		.amdhsa_exception_fp_ieee_div_zero 0
		.amdhsa_exception_fp_ieee_overflow 0
		.amdhsa_exception_fp_ieee_underflow 0
		.amdhsa_exception_fp_ieee_inexact 0
		.amdhsa_exception_int_div_zero 0
	.end_amdhsa_kernel
	.section	.text._ZN9rocsparseL28csrmmnn_general_block_reduceILj1024EllddEEvT0_PKT1_PKT3_PT2_l16rocsparse_order_,"axG",@progbits,_ZN9rocsparseL28csrmmnn_general_block_reduceILj1024EllddEEvT0_PKT1_PKT3_PT2_l16rocsparse_order_,comdat
.Lfunc_end8:
	.size	_ZN9rocsparseL28csrmmnn_general_block_reduceILj1024EllddEEvT0_PKT1_PKT3_PT2_l16rocsparse_order_, .Lfunc_end8-_ZN9rocsparseL28csrmmnn_general_block_reduceILj1024EllddEEvT0_PKT1_PKT3_PT2_l16rocsparse_order_
                                        ; -- End function
	.section	.AMDGPU.csdata,"",@progbits
; Kernel info:
; codeLenInByte = 1900
; NumSgprs: 46
; NumVgprs: 36
; NumAgprs: 0
; TotalNumVgprs: 36
; ScratchSize: 0
; MemoryBound: 0
; FloatMode: 240
; IeeeMode: 1
; LDSByteSize: 16384 bytes/workgroup (compile time only)
; SGPRBlocks: 5
; VGPRBlocks: 4
; NumSGPRsForWavesPerEU: 46
; NumVGPRsForWavesPerEU: 36
; AccumOffset: 36
; Occupancy: 8
; WaveLimiterHint : 0
; COMPUTE_PGM_RSRC2:SCRATCH_EN: 0
; COMPUTE_PGM_RSRC2:USER_SGPR: 6
; COMPUTE_PGM_RSRC2:TRAP_HANDLER: 0
; COMPUTE_PGM_RSRC2:TGID_X_EN: 1
; COMPUTE_PGM_RSRC2:TGID_Y_EN: 0
; COMPUTE_PGM_RSRC2:TGID_Z_EN: 0
; COMPUTE_PGM_RSRC2:TIDIG_COMP_CNT: 0
; COMPUTE_PGM_RSRC3_GFX90A:ACCUM_OFFSET: 8
; COMPUTE_PGM_RSRC3_GFX90A:TG_SPLIT: 0
	.section	.text._ZN9rocsparseL28csrmmnn_general_block_reduceILj1024Eii21rocsparse_complex_numIfES2_EEvT0_PKT1_PKT3_PT2_l16rocsparse_order_,"axG",@progbits,_ZN9rocsparseL28csrmmnn_general_block_reduceILj1024Eii21rocsparse_complex_numIfES2_EEvT0_PKT1_PKT3_PT2_l16rocsparse_order_,comdat
	.globl	_ZN9rocsparseL28csrmmnn_general_block_reduceILj1024Eii21rocsparse_complex_numIfES2_EEvT0_PKT1_PKT3_PT2_l16rocsparse_order_ ; -- Begin function _ZN9rocsparseL28csrmmnn_general_block_reduceILj1024Eii21rocsparse_complex_numIfES2_EEvT0_PKT1_PKT3_PT2_l16rocsparse_order_
	.p2align	8
	.type	_ZN9rocsparseL28csrmmnn_general_block_reduceILj1024Eii21rocsparse_complex_numIfES2_EEvT0_PKT1_PKT3_PT2_l16rocsparse_order_,@function
_ZN9rocsparseL28csrmmnn_general_block_reduceILj1024Eii21rocsparse_complex_numIfES2_EEvT0_PKT1_PKT3_PT2_l16rocsparse_order_: ; @_ZN9rocsparseL28csrmmnn_general_block_reduceILj1024Eii21rocsparse_complex_numIfES2_EEvT0_PKT1_PKT3_PT2_l16rocsparse_order_
; %bb.0:
	s_load_dword s33, s[4:5], 0x0
	v_lshlrev_b32_e32 v1, 2, v0
	v_mov_b32_e32 v2, -1
	v_mov_b32_e32 v3, 0
	ds_write_b32 v1, v2 offset:8192
	v_lshlrev_b32_e32 v8, 3, v0
	v_mov_b32_e32 v2, v3
	s_waitcnt lgkmcnt(0)
	v_cmp_gt_i32_e32 vcc, s33, v0
	ds_write_b64 v8, v[2:3]
	s_waitcnt lgkmcnt(0)
	s_barrier
	s_and_saveexec_b64 s[0:1], vcc
	s_cbranch_execz .LBB9_51
; %bb.1:
	s_load_dword s7, s[4:5], 0x28
	s_load_dwordx8 s[24:31], s[4:5], 0x8
	s_mul_i32 s38, s6, s33
	v_or_b32_e32 v9, 0x2000, v1
	s_movk_i32 s14, 0x7f
	s_waitcnt lgkmcnt(0)
	s_cmp_lg_u32 s7, 1
	s_cselect_b64 s[34:35], -1, 0
	s_ashr_i32 s7, s6, 31
	s_lshl_b64 s[36:37], s[6:7], 3
	s_add_u32 s39, s28, s36
	s_addc_u32 s40, s29, s37
	s_mul_i32 s36, s6, s31
	s_mul_hi_u32 s37, s6, s30
	s_add_i32 s36, s37, s36
	s_mul_i32 s7, s7, s30
	s_add_i32 s7, s36, s7
	s_mul_i32 s6, s6, s30
	s_lshl_b64 s[6:7], s[6:7], 3
	s_movk_i32 s16, 0xff
	s_movk_i32 s18, 0x1ff
	;; [unrolled: 1-line block ×3, first 2 shown]
	s_add_u32 s41, s28, s6
	v_cmp_ne_u32_e64 s[0:1], 0, v0
	v_add_u32_e32 v10, -4, v9
	v_add_u32_e32 v11, -8, v8
	v_cmp_lt_u32_e64 s[2:3], 1, v0
	v_add_u32_e32 v12, -8, v9
	v_add_u32_e32 v13, -16, v8
	v_cmp_lt_u32_e64 s[4:5], 3, v0
	v_add_u32_e32 v14, -16, v9
	v_subrev_u32_e32 v15, 32, v8
	v_cmp_lt_u32_e64 s[22:23], 7, v0
	v_subrev_u32_e32 v16, 32, v9
	v_subrev_u32_e32 v17, 64, v8
	v_cmp_lt_u32_e64 s[8:9], 15, v0
	v_subrev_u32_e32 v18, 64, v9
	v_add_u32_e32 v19, 0xffffff80, v8
	v_cmp_lt_u32_e64 s[10:11], 31, v0
	v_add_u32_e32 v20, 0xffffff80, v9
	v_add_u32_e32 v21, 0xffffff00, v8
	v_cmp_lt_u32_e64 s[12:13], 63, v0
	v_add_u32_e32 v22, 0xffffff00, v9
	;; [unrolled: 3-line block ×5, first 2 shown]
	v_add_u32_e32 v29, 0xfffff000, v8
	v_cmp_ne_u32_e64 s[20:21], s20, v0
	s_addc_u32 s42, s29, s7
	s_mov_b64 s[28:29], 0
	v_mov_b32_e32 v30, s25
	v_mov_b32_e32 v31, s27
	s_branch .LBB9_4
.LBB9_2:                                ;   in Loop: Header=BB9_4 Depth=1
	global_load_dwordx2 v[6:7], v[4:5], off
	ds_read_b64 v[32:33], v8
	s_waitcnt vmcnt(0) lgkmcnt(0)
	v_pk_add_f32 v[6:7], v[32:33], v[6:7]
	global_store_dwordx2 v[4:5], v[6:7], off
.LBB9_3:                                ;   in Loop: Header=BB9_4 Depth=1
	s_or_b64 exec, exec, s[6:7]
	v_add_u32_e32 v0, 0x400, v0
	v_cmp_le_i32_e32 vcc, s33, v0
	s_or_b64 s[28:29], vcc, s[28:29]
	s_barrier
	s_andn2_b64 exec, exec, s[28:29]
	s_cbranch_execz .LBB9_51
.LBB9_4:                                ; =>This Inner Loop Header: Depth=1
	v_ashrrev_i32_e32 v1, 31, v0
	v_lshlrev_b64 v[4:5], 2, v[0:1]
	v_add_co_u32_e32 v4, vcc, s24, v4
	v_addc_co_u32_e32 v5, vcc, v30, v5, vcc
	global_load_dword v1, v[4:5], off
	v_add_u32_e32 v4, s38, v0
	v_ashrrev_i32_e32 v5, 31, v4
	v_lshlrev_b64 v[4:5], 3, v[4:5]
	v_add_co_u32_e32 v4, vcc, s26, v4
	v_addc_co_u32_e32 v5, vcc, v31, v5, vcc
	global_load_dwordx2 v[32:33], v[4:5], off
	v_mov_b32_e32 v4, 0
	v_mov_b32_e32 v6, 0
	;; [unrolled: 1-line block ×3, first 2 shown]
	s_waitcnt vmcnt(1)
	ds_write_b32 v9, v1
	s_waitcnt vmcnt(0)
	ds_write_b64 v8, v[32:33]
	s_waitcnt lgkmcnt(0)
	s_barrier
	s_and_saveexec_b64 s[6:7], s[0:1]
	s_cbranch_execz .LBB9_8
; %bb.5:                                ;   in Loop: Header=BB9_4 Depth=1
	ds_read2_b32 v[32:33], v10 offset1:1
	v_mov_b32_e32 v7, 0
	v_mov_b32_e32 v6, 0
	s_waitcnt lgkmcnt(0)
	v_cmp_eq_u32_e32 vcc, v33, v32
	s_and_saveexec_b64 s[36:37], vcc
	s_cbranch_execz .LBB9_7
; %bb.6:                                ;   in Loop: Header=BB9_4 Depth=1
	ds_read_b64 v[6:7], v11
.LBB9_7:                                ;   in Loop: Header=BB9_4 Depth=1
	s_or_b64 exec, exec, s[36:37]
.LBB9_8:                                ;   in Loop: Header=BB9_4 Depth=1
	s_or_b64 exec, exec, s[6:7]
	s_waitcnt lgkmcnt(0)
	s_barrier
	ds_read_b64 v[32:33], v8
	v_mov_b32_e32 v5, 0
	s_waitcnt lgkmcnt(0)
	v_pk_add_f32 v[6:7], v[6:7], v[32:33]
	ds_write_b64 v8, v[6:7]
	s_waitcnt lgkmcnt(0)
	s_barrier
	s_and_saveexec_b64 s[6:7], s[2:3]
	s_cbranch_execz .LBB9_12
; %bb.9:                                ;   in Loop: Header=BB9_4 Depth=1
	ds_read_b32 v1, v9
	ds_read_b32 v2, v12
	v_mov_b32_e32 v5, 0
	v_mov_b32_e32 v4, 0
	s_waitcnt lgkmcnt(0)
	v_cmp_eq_u32_e32 vcc, v1, v2
	s_and_saveexec_b64 s[36:37], vcc
	s_cbranch_execz .LBB9_11
; %bb.10:                               ;   in Loop: Header=BB9_4 Depth=1
	ds_read_b64 v[4:5], v13
.LBB9_11:                               ;   in Loop: Header=BB9_4 Depth=1
	s_or_b64 exec, exec, s[36:37]
.LBB9_12:                               ;   in Loop: Header=BB9_4 Depth=1
	s_or_b64 exec, exec, s[6:7]
	s_waitcnt lgkmcnt(0)
	s_barrier
	ds_read_b64 v[6:7], v8
	s_waitcnt lgkmcnt(0)
	v_pk_add_f32 v[4:5], v[4:5], v[6:7]
	ds_write_b64 v8, v[4:5]
	v_mov_b32_e32 v4, 0
	v_mov_b32_e32 v6, 0
	v_mov_b32_e32 v7, 0
	s_waitcnt lgkmcnt(0)
	s_barrier
	s_and_saveexec_b64 s[6:7], s[4:5]
	s_cbranch_execz .LBB9_16
; %bb.13:                               ;   in Loop: Header=BB9_4 Depth=1
	ds_read_b32 v1, v9
	ds_read_b32 v2, v14
	v_mov_b32_e32 v7, 0
	v_mov_b32_e32 v6, 0
	s_waitcnt lgkmcnt(0)
	v_cmp_eq_u32_e32 vcc, v1, v2
	s_and_saveexec_b64 s[36:37], vcc
	s_cbranch_execz .LBB9_15
; %bb.14:                               ;   in Loop: Header=BB9_4 Depth=1
	ds_read_b64 v[6:7], v15
.LBB9_15:                               ;   in Loop: Header=BB9_4 Depth=1
	s_or_b64 exec, exec, s[36:37]
.LBB9_16:                               ;   in Loop: Header=BB9_4 Depth=1
	s_or_b64 exec, exec, s[6:7]
	s_waitcnt lgkmcnt(0)
	s_barrier
	ds_read_b64 v[32:33], v8
	v_mov_b32_e32 v5, 0
	s_waitcnt lgkmcnt(0)
	v_pk_add_f32 v[6:7], v[6:7], v[32:33]
	ds_write_b64 v8, v[6:7]
	s_waitcnt lgkmcnt(0)
	s_barrier
	s_and_saveexec_b64 s[6:7], s[22:23]
	s_cbranch_execz .LBB9_20
; %bb.17:                               ;   in Loop: Header=BB9_4 Depth=1
	ds_read_b32 v1, v9
	ds_read_b32 v2, v16
	v_mov_b32_e32 v5, 0
	v_mov_b32_e32 v4, 0
	s_waitcnt lgkmcnt(0)
	v_cmp_eq_u32_e32 vcc, v1, v2
	s_and_saveexec_b64 s[36:37], vcc
	s_cbranch_execz .LBB9_19
; %bb.18:                               ;   in Loop: Header=BB9_4 Depth=1
	ds_read_b64 v[4:5], v17
.LBB9_19:                               ;   in Loop: Header=BB9_4 Depth=1
	s_or_b64 exec, exec, s[36:37]
.LBB9_20:                               ;   in Loop: Header=BB9_4 Depth=1
	s_or_b64 exec, exec, s[6:7]
	s_waitcnt lgkmcnt(0)
	s_barrier
	ds_read_b64 v[6:7], v8
	s_waitcnt lgkmcnt(0)
	v_pk_add_f32 v[4:5], v[4:5], v[6:7]
	ds_write_b64 v8, v[4:5]
	v_mov_b32_e32 v4, 0
	v_mov_b32_e32 v6, 0
	v_mov_b32_e32 v7, 0
	s_waitcnt lgkmcnt(0)
	s_barrier
	s_and_saveexec_b64 s[6:7], s[8:9]
	s_cbranch_execz .LBB9_24
; %bb.21:                               ;   in Loop: Header=BB9_4 Depth=1
	ds_read_b32 v1, v9
	ds_read_b32 v2, v18
	v_mov_b32_e32 v7, 0
	v_mov_b32_e32 v6, 0
	s_waitcnt lgkmcnt(0)
	v_cmp_eq_u32_e32 vcc, v1, v2
	s_and_saveexec_b64 s[36:37], vcc
	s_cbranch_execz .LBB9_23
; %bb.22:                               ;   in Loop: Header=BB9_4 Depth=1
	ds_read_b64 v[6:7], v19
.LBB9_23:                               ;   in Loop: Header=BB9_4 Depth=1
	s_or_b64 exec, exec, s[36:37]
.LBB9_24:                               ;   in Loop: Header=BB9_4 Depth=1
	s_or_b64 exec, exec, s[6:7]
	s_waitcnt lgkmcnt(0)
	s_barrier
	ds_read_b64 v[32:33], v8
	v_mov_b32_e32 v5, 0
	s_waitcnt lgkmcnt(0)
	v_pk_add_f32 v[6:7], v[6:7], v[32:33]
	ds_write_b64 v8, v[6:7]
	s_waitcnt lgkmcnt(0)
	s_barrier
	s_and_saveexec_b64 s[6:7], s[10:11]
	s_cbranch_execz .LBB9_28
; %bb.25:                               ;   in Loop: Header=BB9_4 Depth=1
	ds_read_b32 v1, v9
	ds_read_b32 v2, v20
	v_mov_b32_e32 v5, 0
	v_mov_b32_e32 v4, 0
	s_waitcnt lgkmcnt(0)
	v_cmp_eq_u32_e32 vcc, v1, v2
	s_and_saveexec_b64 s[36:37], vcc
	s_cbranch_execz .LBB9_27
; %bb.26:                               ;   in Loop: Header=BB9_4 Depth=1
	ds_read_b64 v[4:5], v21
.LBB9_27:                               ;   in Loop: Header=BB9_4 Depth=1
	s_or_b64 exec, exec, s[36:37]
.LBB9_28:                               ;   in Loop: Header=BB9_4 Depth=1
	;; [unrolled: 54-line block ×4, first 2 shown]
	s_or_b64 exec, exec, s[6:7]
	s_waitcnt lgkmcnt(0)
	s_barrier
	ds_read_b64 v[6:7], v8
	v_mov_b32_e32 v1, -1
	s_waitcnt lgkmcnt(0)
	v_pk_add_f32 v[4:5], v[4:5], v[6:7]
	ds_write_b64 v8, v[4:5]
	s_waitcnt lgkmcnt(0)
	s_barrier
	ds_read_b32 v2, v9
	s_and_saveexec_b64 s[6:7], s[20:21]
	s_cbranch_execz .LBB9_46
; %bb.45:                               ;   in Loop: Header=BB9_4 Depth=1
	ds_read_b32 v1, v9 offset:4
.LBB9_46:                               ;   in Loop: Header=BB9_4 Depth=1
	s_or_b64 exec, exec, s[6:7]
	s_waitcnt lgkmcnt(0)
	v_cmp_ne_u32_e32 vcc, v2, v1
	v_cmp_lt_i32_e64 s[6:7], -1, v2
	s_and_b64 s[36:37], s[6:7], vcc
	s_and_saveexec_b64 s[6:7], s[36:37]
	s_cbranch_execz .LBB9_3
; %bb.47:                               ;   in Loop: Header=BB9_4 Depth=1
	s_and_b64 vcc, exec, s[34:35]
	s_cbranch_vccz .LBB9_49
; %bb.48:                               ;   in Loop: Header=BB9_4 Depth=1
	v_mad_u64_u32 v[4:5], s[36:37], v2, s30, 0
	v_mov_b32_e32 v6, v5
	v_mad_u64_u32 v[6:7], s[36:37], v2, s31, v[6:7]
	v_mov_b32_e32 v5, v6
	v_lshlrev_b64 v[4:5], 3, v[4:5]
	v_mov_b32_e32 v1, s40
	v_add_co_u32_e32 v4, vcc, s39, v4
	v_addc_co_u32_e32 v5, vcc, v1, v5, vcc
	s_cbranch_execnz .LBB9_2
	s_branch .LBB9_50
.LBB9_49:                               ;   in Loop: Header=BB9_4 Depth=1
                                        ; implicit-def: $vgpr4_vgpr5
.LBB9_50:                               ;   in Loop: Header=BB9_4 Depth=1
	v_lshlrev_b64 v[4:5], 3, v[2:3]
	v_mov_b32_e32 v1, s42
	v_add_co_u32_e32 v4, vcc, s41, v4
	v_addc_co_u32_e32 v5, vcc, v1, v5, vcc
	s_branch .LBB9_2
.LBB9_51:
	s_endpgm
	.section	.rodata,"a",@progbits
	.p2align	6, 0x0
	.amdhsa_kernel _ZN9rocsparseL28csrmmnn_general_block_reduceILj1024Eii21rocsparse_complex_numIfES2_EEvT0_PKT1_PKT3_PT2_l16rocsparse_order_
		.amdhsa_group_segment_fixed_size 12288
		.amdhsa_private_segment_fixed_size 0
		.amdhsa_kernarg_size 44
		.amdhsa_user_sgpr_count 6
		.amdhsa_user_sgpr_private_segment_buffer 1
		.amdhsa_user_sgpr_dispatch_ptr 0
		.amdhsa_user_sgpr_queue_ptr 0
		.amdhsa_user_sgpr_kernarg_segment_ptr 1
		.amdhsa_user_sgpr_dispatch_id 0
		.amdhsa_user_sgpr_flat_scratch_init 0
		.amdhsa_user_sgpr_kernarg_preload_length 0
		.amdhsa_user_sgpr_kernarg_preload_offset 0
		.amdhsa_user_sgpr_private_segment_size 0
		.amdhsa_uses_dynamic_stack 0
		.amdhsa_system_sgpr_private_segment_wavefront_offset 0
		.amdhsa_system_sgpr_workgroup_id_x 1
		.amdhsa_system_sgpr_workgroup_id_y 0
		.amdhsa_system_sgpr_workgroup_id_z 0
		.amdhsa_system_sgpr_workgroup_info 0
		.amdhsa_system_vgpr_workitem_id 0
		.amdhsa_next_free_vgpr 34
		.amdhsa_next_free_sgpr 43
		.amdhsa_accum_offset 36
		.amdhsa_reserve_vcc 1
		.amdhsa_reserve_flat_scratch 0
		.amdhsa_float_round_mode_32 0
		.amdhsa_float_round_mode_16_64 0
		.amdhsa_float_denorm_mode_32 3
		.amdhsa_float_denorm_mode_16_64 3
		.amdhsa_dx10_clamp 1
		.amdhsa_ieee_mode 1
		.amdhsa_fp16_overflow 0
		.amdhsa_tg_split 0
		.amdhsa_exception_fp_ieee_invalid_op 0
		.amdhsa_exception_fp_denorm_src 0
		.amdhsa_exception_fp_ieee_div_zero 0
		.amdhsa_exception_fp_ieee_overflow 0
		.amdhsa_exception_fp_ieee_underflow 0
		.amdhsa_exception_fp_ieee_inexact 0
		.amdhsa_exception_int_div_zero 0
	.end_amdhsa_kernel
	.section	.text._ZN9rocsparseL28csrmmnn_general_block_reduceILj1024Eii21rocsparse_complex_numIfES2_EEvT0_PKT1_PKT3_PT2_l16rocsparse_order_,"axG",@progbits,_ZN9rocsparseL28csrmmnn_general_block_reduceILj1024Eii21rocsparse_complex_numIfES2_EEvT0_PKT1_PKT3_PT2_l16rocsparse_order_,comdat
.Lfunc_end9:
	.size	_ZN9rocsparseL28csrmmnn_general_block_reduceILj1024Eii21rocsparse_complex_numIfES2_EEvT0_PKT1_PKT3_PT2_l16rocsparse_order_, .Lfunc_end9-_ZN9rocsparseL28csrmmnn_general_block_reduceILj1024Eii21rocsparse_complex_numIfES2_EEvT0_PKT1_PKT3_PT2_l16rocsparse_order_
                                        ; -- End function
	.section	.AMDGPU.csdata,"",@progbits
; Kernel info:
; codeLenInByte = 1864
; NumSgprs: 47
; NumVgprs: 34
; NumAgprs: 0
; TotalNumVgprs: 34
; ScratchSize: 0
; MemoryBound: 0
; FloatMode: 240
; IeeeMode: 1
; LDSByteSize: 12288 bytes/workgroup (compile time only)
; SGPRBlocks: 5
; VGPRBlocks: 4
; NumSGPRsForWavesPerEU: 47
; NumVGPRsForWavesPerEU: 34
; AccumOffset: 36
; Occupancy: 8
; WaveLimiterHint : 0
; COMPUTE_PGM_RSRC2:SCRATCH_EN: 0
; COMPUTE_PGM_RSRC2:USER_SGPR: 6
; COMPUTE_PGM_RSRC2:TRAP_HANDLER: 0
; COMPUTE_PGM_RSRC2:TGID_X_EN: 1
; COMPUTE_PGM_RSRC2:TGID_Y_EN: 0
; COMPUTE_PGM_RSRC2:TGID_Z_EN: 0
; COMPUTE_PGM_RSRC2:TIDIG_COMP_CNT: 0
; COMPUTE_PGM_RSRC3_GFX90A:ACCUM_OFFSET: 8
; COMPUTE_PGM_RSRC3_GFX90A:TG_SPLIT: 0
	.section	.text._ZN9rocsparseL28csrmmnn_general_block_reduceILj1024Eli21rocsparse_complex_numIfES2_EEvT0_PKT1_PKT3_PT2_l16rocsparse_order_,"axG",@progbits,_ZN9rocsparseL28csrmmnn_general_block_reduceILj1024Eli21rocsparse_complex_numIfES2_EEvT0_PKT1_PKT3_PT2_l16rocsparse_order_,comdat
	.globl	_ZN9rocsparseL28csrmmnn_general_block_reduceILj1024Eli21rocsparse_complex_numIfES2_EEvT0_PKT1_PKT3_PT2_l16rocsparse_order_ ; -- Begin function _ZN9rocsparseL28csrmmnn_general_block_reduceILj1024Eli21rocsparse_complex_numIfES2_EEvT0_PKT1_PKT3_PT2_l16rocsparse_order_
	.p2align	8
	.type	_ZN9rocsparseL28csrmmnn_general_block_reduceILj1024Eli21rocsparse_complex_numIfES2_EEvT0_PKT1_PKT3_PT2_l16rocsparse_order_,@function
_ZN9rocsparseL28csrmmnn_general_block_reduceILj1024Eli21rocsparse_complex_numIfES2_EEvT0_PKT1_PKT3_PT2_l16rocsparse_order_: ; @_ZN9rocsparseL28csrmmnn_general_block_reduceILj1024Eli21rocsparse_complex_numIfES2_EEvT0_PKT1_PKT3_PT2_l16rocsparse_order_
; %bb.0:
	s_load_dwordx2 s[34:35], s[4:5], 0x0
	v_mov_b32_e32 v1, 0
	v_mov_b32_e32 v2, -1
	v_lshlrev_b32_e32 v10, 3, v0
	v_mov_b32_e32 v3, v2
	s_mov_b32 s7, 0
	v_mov_b32_e32 v4, v1
	v_mov_b32_e32 v5, v1
	s_waitcnt lgkmcnt(0)
	v_cmp_gt_i64_e32 vcc, s[34:35], v[0:1]
	ds_write2st64_b64 v10, v[2:3], v[4:5] offset1:16
	s_waitcnt lgkmcnt(0)
	s_barrier
	s_and_saveexec_b64 s[0:1], vcc
	s_cbranch_execz .LBB10_51
; %bb.1:
	s_load_dwordx8 s[24:31], s[4:5], 0x8
	s_load_dword s36, s[4:5], 0x28
	s_lshl_b64 s[2:3], s[6:7], 3
	s_movk_i32 s7, 0x7f
	v_cmp_lt_u32_e64 s[14:15], s7, v0
	s_movk_i32 s7, 0xff
	s_waitcnt lgkmcnt(0)
	s_add_u32 s33, s28, s2
	v_cmp_lt_u32_e64 s[16:17], s7, v0
	s_movk_i32 s7, 0x1ff
	s_addc_u32 s38, s29, s3
	v_cmp_lt_u32_e64 s[18:19], s7, v0
	s_movk_i32 s7, 0x3ff
	v_cmp_ne_u32_e64 s[20:21], s7, v0
	s_cmp_lg_u32 s36, 1
	s_mul_i32 s7, s6, s31
	s_mul_hi_u32 s39, s6, s30
	s_cselect_b64 s[36:37], -1, 0
	s_add_i32 s41, s39, s7
	s_mul_i32 s40, s6, s30
	s_lshl_b64 s[40:41], s[40:41], 3
	s_add_u32 s28, s28, s40
	s_mul_i32 s7, s35, s6
	s_mul_hi_u32 s39, s34, s6
	s_addc_u32 s29, s29, s41
	s_add_i32 s7, s39, s7
	s_mul_i32 s6, s34, s6
	s_lshl_b64 s[6:7], s[6:7], 3
	s_add_u32 s6, s26, s6
	v_lshlrev_b32_e32 v2, 3, v0
	s_addc_u32 s7, s27, s7
	v_mov_b32_e32 v3, s7
	v_add_co_u32_e32 v2, vcc, s6, v2
	v_addc_co_u32_e32 v3, vcc, 0, v3, vcc
	v_lshlrev_b32_e32 v4, 2, v0
	v_or_b32_e32 v11, 0x2000, v10
	v_mov_b32_e32 v5, s25
	v_add_co_u32_e32 v4, vcc, s24, v4
	v_cmp_ne_u32_e64 s[0:1], 0, v0
	v_add_u32_e32 v12, -8, v10
	v_add_u32_e32 v13, -8, v11
	v_cmp_lt_u32_e64 s[2:3], 1, v0
	v_add_u32_e32 v14, -16, v10
	v_add_u32_e32 v15, -16, v11
	v_cmp_lt_u32_e64 s[4:5], 3, v0
	v_subrev_u32_e32 v16, 32, v10
	v_subrev_u32_e32 v17, 32, v11
	v_cmp_lt_u32_e64 s[22:23], 7, v0
	v_subrev_u32_e32 v18, 64, v10
	v_subrev_u32_e32 v19, 64, v11
	v_cmp_lt_u32_e64 s[8:9], 15, v0
	v_add_u32_e32 v20, 0xffffff80, v10
	v_add_u32_e32 v21, 0xffffff80, v11
	v_cmp_lt_u32_e64 s[10:11], 31, v0
	v_add_u32_e32 v22, 0xffffff00, v10
	v_add_u32_e32 v23, 0xffffff00, v11
	;; [unrolled: 3-line block ×3, first 2 shown]
	v_add_u32_e32 v26, 0xfffffc00, v10
	v_add_u32_e32 v27, 0xfffffc00, v11
	;; [unrolled: 1-line block ×6, first 2 shown]
	v_addc_co_u32_e32 v5, vcc, 0, v5, vcc
	s_mov_b64 s[24:25], 0
	s_branch .LBB10_4
.LBB10_2:                               ;   in Loop: Header=BB10_4 Depth=1
	global_load_dwordx2 v[6:7], v[8:9], off
	ds_read_b64 v[32:33], v11
	s_waitcnt vmcnt(0) lgkmcnt(0)
	v_pk_add_f32 v[6:7], v[32:33], v[6:7]
	global_store_dwordx2 v[8:9], v[6:7], off
.LBB10_3:                               ;   in Loop: Header=BB10_4 Depth=1
	s_or_b64 exec, exec, s[6:7]
	v_add_co_u32_e32 v0, vcc, 0x400, v0
	v_addc_co_u32_e32 v1, vcc, 0, v1, vcc
	v_add_co_u32_e32 v2, vcc, 0x2000, v2
	v_addc_co_u32_e32 v3, vcc, 0, v3, vcc
	v_add_co_u32_e32 v4, vcc, 0x1000, v4
	v_cmp_le_i64_e64 s[6:7], s[34:35], v[0:1]
	s_or_b64 s[24:25], s[6:7], s[24:25]
	v_addc_co_u32_e32 v5, vcc, 0, v5, vcc
	s_barrier
	s_andn2_b64 exec, exec, s[24:25]
	s_cbranch_execz .LBB10_51
.LBB10_4:                               ; =>This Inner Loop Header: Depth=1
	global_load_dword v32, v[4:5], off
	global_load_dwordx2 v[34:35], v[2:3], off
	v_mov_b32_e32 v6, 0
	v_mov_b32_e32 v8, 0
	;; [unrolled: 1-line block ×3, first 2 shown]
	s_waitcnt vmcnt(1)
	v_ashrrev_i32_e32 v33, 31, v32
	s_waitcnt vmcnt(0)
	ds_write_b64 v11, v[34:35]
	ds_write_b64 v10, v[32:33]
	s_waitcnt lgkmcnt(0)
	s_barrier
	s_and_saveexec_b64 s[6:7], s[0:1]
	s_cbranch_execz .LBB10_8
; %bb.5:                                ;   in Loop: Header=BB10_4 Depth=1
	ds_read2_b64 v[32:35], v12 offset1:1
	v_mov_b32_e32 v9, 0
	v_mov_b32_e32 v8, 0
	s_waitcnt lgkmcnt(0)
	v_cmp_eq_u64_e32 vcc, v[34:35], v[32:33]
	s_and_saveexec_b64 s[26:27], vcc
	s_cbranch_execz .LBB10_7
; %bb.6:                                ;   in Loop: Header=BB10_4 Depth=1
	ds_read_b64 v[8:9], v13
.LBB10_7:                               ;   in Loop: Header=BB10_4 Depth=1
	s_or_b64 exec, exec, s[26:27]
.LBB10_8:                               ;   in Loop: Header=BB10_4 Depth=1
	s_or_b64 exec, exec, s[6:7]
	s_waitcnt lgkmcnt(0)
	s_barrier
	ds_read_b64 v[32:33], v11
	v_mov_b32_e32 v7, 0
	s_waitcnt lgkmcnt(0)
	v_pk_add_f32 v[8:9], v[8:9], v[32:33]
	ds_write_b64 v11, v[8:9]
	s_waitcnt lgkmcnt(0)
	s_barrier
	s_and_saveexec_b64 s[6:7], s[2:3]
	s_cbranch_execz .LBB10_12
; %bb.9:                                ;   in Loop: Header=BB10_4 Depth=1
	ds_read_b64 v[8:9], v10
	ds_read_b64 v[32:33], v14
	v_mov_b32_e32 v7, 0
	v_mov_b32_e32 v6, 0
	s_waitcnt lgkmcnt(0)
	v_cmp_eq_u64_e32 vcc, v[8:9], v[32:33]
	s_and_saveexec_b64 s[26:27], vcc
	s_cbranch_execz .LBB10_11
; %bb.10:                               ;   in Loop: Header=BB10_4 Depth=1
	ds_read_b64 v[6:7], v15
.LBB10_11:                              ;   in Loop: Header=BB10_4 Depth=1
	s_or_b64 exec, exec, s[26:27]
.LBB10_12:                              ;   in Loop: Header=BB10_4 Depth=1
	s_or_b64 exec, exec, s[6:7]
	s_waitcnt lgkmcnt(0)
	s_barrier
	ds_read_b64 v[8:9], v11
	s_waitcnt lgkmcnt(0)
	v_pk_add_f32 v[6:7], v[6:7], v[8:9]
	ds_write_b64 v11, v[6:7]
	v_mov_b32_e32 v6, 0
	v_mov_b32_e32 v8, 0
	v_mov_b32_e32 v9, 0
	s_waitcnt lgkmcnt(0)
	s_barrier
	s_and_saveexec_b64 s[6:7], s[4:5]
	s_cbranch_execz .LBB10_16
; %bb.13:                               ;   in Loop: Header=BB10_4 Depth=1
	ds_read_b64 v[32:33], v10
	ds_read_b64 v[34:35], v16
	v_mov_b32_e32 v9, 0
	v_mov_b32_e32 v8, 0
	s_waitcnt lgkmcnt(0)
	v_cmp_eq_u64_e32 vcc, v[32:33], v[34:35]
	s_and_saveexec_b64 s[26:27], vcc
	s_cbranch_execz .LBB10_15
; %bb.14:                               ;   in Loop: Header=BB10_4 Depth=1
	ds_read_b64 v[8:9], v17
.LBB10_15:                              ;   in Loop: Header=BB10_4 Depth=1
	s_or_b64 exec, exec, s[26:27]
.LBB10_16:                              ;   in Loop: Header=BB10_4 Depth=1
	s_or_b64 exec, exec, s[6:7]
	s_waitcnt lgkmcnt(0)
	s_barrier
	ds_read_b64 v[32:33], v11
	v_mov_b32_e32 v7, 0
	s_waitcnt lgkmcnt(0)
	v_pk_add_f32 v[8:9], v[8:9], v[32:33]
	ds_write_b64 v11, v[8:9]
	s_waitcnt lgkmcnt(0)
	s_barrier
	s_and_saveexec_b64 s[6:7], s[22:23]
	s_cbranch_execz .LBB10_20
; %bb.17:                               ;   in Loop: Header=BB10_4 Depth=1
	ds_read_b64 v[8:9], v10
	ds_read_b64 v[32:33], v18
	v_mov_b32_e32 v7, 0
	v_mov_b32_e32 v6, 0
	s_waitcnt lgkmcnt(0)
	v_cmp_eq_u64_e32 vcc, v[8:9], v[32:33]
	s_and_saveexec_b64 s[26:27], vcc
	s_cbranch_execz .LBB10_19
; %bb.18:                               ;   in Loop: Header=BB10_4 Depth=1
	ds_read_b64 v[6:7], v19
.LBB10_19:                              ;   in Loop: Header=BB10_4 Depth=1
	s_or_b64 exec, exec, s[26:27]
.LBB10_20:                              ;   in Loop: Header=BB10_4 Depth=1
	s_or_b64 exec, exec, s[6:7]
	s_waitcnt lgkmcnt(0)
	s_barrier
	ds_read_b64 v[8:9], v11
	s_waitcnt lgkmcnt(0)
	v_pk_add_f32 v[6:7], v[6:7], v[8:9]
	ds_write_b64 v11, v[6:7]
	v_mov_b32_e32 v6, 0
	v_mov_b32_e32 v8, 0
	v_mov_b32_e32 v9, 0
	s_waitcnt lgkmcnt(0)
	s_barrier
	s_and_saveexec_b64 s[6:7], s[8:9]
	s_cbranch_execz .LBB10_24
; %bb.21:                               ;   in Loop: Header=BB10_4 Depth=1
	ds_read_b64 v[32:33], v10
	ds_read_b64 v[34:35], v20
	v_mov_b32_e32 v9, 0
	v_mov_b32_e32 v8, 0
	s_waitcnt lgkmcnt(0)
	v_cmp_eq_u64_e32 vcc, v[32:33], v[34:35]
	s_and_saveexec_b64 s[26:27], vcc
	s_cbranch_execz .LBB10_23
; %bb.22:                               ;   in Loop: Header=BB10_4 Depth=1
	ds_read_b64 v[8:9], v21
.LBB10_23:                              ;   in Loop: Header=BB10_4 Depth=1
	s_or_b64 exec, exec, s[26:27]
.LBB10_24:                              ;   in Loop: Header=BB10_4 Depth=1
	s_or_b64 exec, exec, s[6:7]
	s_waitcnt lgkmcnt(0)
	s_barrier
	ds_read_b64 v[32:33], v11
	v_mov_b32_e32 v7, 0
	s_waitcnt lgkmcnt(0)
	v_pk_add_f32 v[8:9], v[8:9], v[32:33]
	ds_write_b64 v11, v[8:9]
	s_waitcnt lgkmcnt(0)
	s_barrier
	s_and_saveexec_b64 s[6:7], s[10:11]
	s_cbranch_execz .LBB10_28
; %bb.25:                               ;   in Loop: Header=BB10_4 Depth=1
	ds_read_b64 v[8:9], v10
	ds_read_b64 v[32:33], v22
	v_mov_b32_e32 v7, 0
	v_mov_b32_e32 v6, 0
	s_waitcnt lgkmcnt(0)
	v_cmp_eq_u64_e32 vcc, v[8:9], v[32:33]
	s_and_saveexec_b64 s[26:27], vcc
	s_cbranch_execz .LBB10_27
; %bb.26:                               ;   in Loop: Header=BB10_4 Depth=1
	ds_read_b64 v[6:7], v23
.LBB10_27:                              ;   in Loop: Header=BB10_4 Depth=1
	s_or_b64 exec, exec, s[26:27]
.LBB10_28:                              ;   in Loop: Header=BB10_4 Depth=1
	;; [unrolled: 54-line block ×4, first 2 shown]
	s_or_b64 exec, exec, s[6:7]
	s_waitcnt lgkmcnt(0)
	s_barrier
	ds_read_b64 v[8:9], v11
	s_waitcnt lgkmcnt(0)
	v_pk_add_f32 v[6:7], v[6:7], v[8:9]
	ds_write_b64 v11, v[6:7]
	s_waitcnt lgkmcnt(0)
	s_barrier
	ds_read_b64 v[6:7], v10
	v_pk_mov_b32 v[8:9], -1, -1
	s_and_saveexec_b64 s[6:7], s[20:21]
	s_cbranch_execz .LBB10_46
; %bb.45:                               ;   in Loop: Header=BB10_4 Depth=1
	ds_read_b64 v[8:9], v10 offset:8
.LBB10_46:                              ;   in Loop: Header=BB10_4 Depth=1
	s_or_b64 exec, exec, s[6:7]
	s_waitcnt lgkmcnt(0)
	v_cmp_ne_u64_e32 vcc, v[6:7], v[8:9]
	v_cmp_lt_i64_e64 s[6:7], -1, v[6:7]
	s_and_b64 s[26:27], s[6:7], vcc
	s_and_saveexec_b64 s[6:7], s[26:27]
	s_cbranch_execz .LBB10_3
; %bb.47:                               ;   in Loop: Header=BB10_4 Depth=1
	s_and_b64 vcc, exec, s[36:37]
	s_cbranch_vccz .LBB10_49
; %bb.48:                               ;   in Loop: Header=BB10_4 Depth=1
	v_mul_lo_u32 v32, v7, s30
	v_mul_lo_u32 v33, v6, s31
	v_mad_u64_u32 v[8:9], s[26:27], v6, s30, 0
	v_add3_u32 v9, v9, v33, v32
	v_lshlrev_b64 v[8:9], 3, v[8:9]
	v_mov_b32_e32 v32, s38
	v_add_co_u32_e32 v8, vcc, s33, v8
	v_addc_co_u32_e32 v9, vcc, v32, v9, vcc
	s_cbranch_execnz .LBB10_2
	s_branch .LBB10_50
.LBB10_49:                              ;   in Loop: Header=BB10_4 Depth=1
                                        ; implicit-def: $vgpr8_vgpr9
.LBB10_50:                              ;   in Loop: Header=BB10_4 Depth=1
	v_lshlrev_b64 v[6:7], 3, v[6:7]
	v_mov_b32_e32 v9, s29
	v_add_co_u32_e32 v8, vcc, s28, v6
	v_addc_co_u32_e32 v9, vcc, v9, v7, vcc
	s_branch .LBB10_2
.LBB10_51:
	s_endpgm
	.section	.rodata,"a",@progbits
	.p2align	6, 0x0
	.amdhsa_kernel _ZN9rocsparseL28csrmmnn_general_block_reduceILj1024Eli21rocsparse_complex_numIfES2_EEvT0_PKT1_PKT3_PT2_l16rocsparse_order_
		.amdhsa_group_segment_fixed_size 16384
		.amdhsa_private_segment_fixed_size 0
		.amdhsa_kernarg_size 44
		.amdhsa_user_sgpr_count 6
		.amdhsa_user_sgpr_private_segment_buffer 1
		.amdhsa_user_sgpr_dispatch_ptr 0
		.amdhsa_user_sgpr_queue_ptr 0
		.amdhsa_user_sgpr_kernarg_segment_ptr 1
		.amdhsa_user_sgpr_dispatch_id 0
		.amdhsa_user_sgpr_flat_scratch_init 0
		.amdhsa_user_sgpr_kernarg_preload_length 0
		.amdhsa_user_sgpr_kernarg_preload_offset 0
		.amdhsa_user_sgpr_private_segment_size 0
		.amdhsa_uses_dynamic_stack 0
		.amdhsa_system_sgpr_private_segment_wavefront_offset 0
		.amdhsa_system_sgpr_workgroup_id_x 1
		.amdhsa_system_sgpr_workgroup_id_y 0
		.amdhsa_system_sgpr_workgroup_id_z 0
		.amdhsa_system_sgpr_workgroup_info 0
		.amdhsa_system_vgpr_workitem_id 0
		.amdhsa_next_free_vgpr 36
		.amdhsa_next_free_sgpr 42
		.amdhsa_accum_offset 36
		.amdhsa_reserve_vcc 1
		.amdhsa_reserve_flat_scratch 0
		.amdhsa_float_round_mode_32 0
		.amdhsa_float_round_mode_16_64 0
		.amdhsa_float_denorm_mode_32 3
		.amdhsa_float_denorm_mode_16_64 3
		.amdhsa_dx10_clamp 1
		.amdhsa_ieee_mode 1
		.amdhsa_fp16_overflow 0
		.amdhsa_tg_split 0
		.amdhsa_exception_fp_ieee_invalid_op 0
		.amdhsa_exception_fp_denorm_src 0
		.amdhsa_exception_fp_ieee_div_zero 0
		.amdhsa_exception_fp_ieee_overflow 0
		.amdhsa_exception_fp_ieee_underflow 0
		.amdhsa_exception_fp_ieee_inexact 0
		.amdhsa_exception_int_div_zero 0
	.end_amdhsa_kernel
	.section	.text._ZN9rocsparseL28csrmmnn_general_block_reduceILj1024Eli21rocsparse_complex_numIfES2_EEvT0_PKT1_PKT3_PT2_l16rocsparse_order_,"axG",@progbits,_ZN9rocsparseL28csrmmnn_general_block_reduceILj1024Eli21rocsparse_complex_numIfES2_EEvT0_PKT1_PKT3_PT2_l16rocsparse_order_,comdat
.Lfunc_end10:
	.size	_ZN9rocsparseL28csrmmnn_general_block_reduceILj1024Eli21rocsparse_complex_numIfES2_EEvT0_PKT1_PKT3_PT2_l16rocsparse_order_, .Lfunc_end10-_ZN9rocsparseL28csrmmnn_general_block_reduceILj1024Eli21rocsparse_complex_numIfES2_EEvT0_PKT1_PKT3_PT2_l16rocsparse_order_
                                        ; -- End function
	.section	.AMDGPU.csdata,"",@progbits
; Kernel info:
; codeLenInByte = 1908
; NumSgprs: 46
; NumVgprs: 36
; NumAgprs: 0
; TotalNumVgprs: 36
; ScratchSize: 0
; MemoryBound: 0
; FloatMode: 240
; IeeeMode: 1
; LDSByteSize: 16384 bytes/workgroup (compile time only)
; SGPRBlocks: 5
; VGPRBlocks: 4
; NumSGPRsForWavesPerEU: 46
; NumVGPRsForWavesPerEU: 36
; AccumOffset: 36
; Occupancy: 8
; WaveLimiterHint : 0
; COMPUTE_PGM_RSRC2:SCRATCH_EN: 0
; COMPUTE_PGM_RSRC2:USER_SGPR: 6
; COMPUTE_PGM_RSRC2:TRAP_HANDLER: 0
; COMPUTE_PGM_RSRC2:TGID_X_EN: 1
; COMPUTE_PGM_RSRC2:TGID_Y_EN: 0
; COMPUTE_PGM_RSRC2:TGID_Z_EN: 0
; COMPUTE_PGM_RSRC2:TIDIG_COMP_CNT: 0
; COMPUTE_PGM_RSRC3_GFX90A:ACCUM_OFFSET: 8
; COMPUTE_PGM_RSRC3_GFX90A:TG_SPLIT: 0
	.section	.text._ZN9rocsparseL28csrmmnn_general_block_reduceILj1024Ell21rocsparse_complex_numIfES2_EEvT0_PKT1_PKT3_PT2_l16rocsparse_order_,"axG",@progbits,_ZN9rocsparseL28csrmmnn_general_block_reduceILj1024Ell21rocsparse_complex_numIfES2_EEvT0_PKT1_PKT3_PT2_l16rocsparse_order_,comdat
	.globl	_ZN9rocsparseL28csrmmnn_general_block_reduceILj1024Ell21rocsparse_complex_numIfES2_EEvT0_PKT1_PKT3_PT2_l16rocsparse_order_ ; -- Begin function _ZN9rocsparseL28csrmmnn_general_block_reduceILj1024Ell21rocsparse_complex_numIfES2_EEvT0_PKT1_PKT3_PT2_l16rocsparse_order_
	.p2align	8
	.type	_ZN9rocsparseL28csrmmnn_general_block_reduceILj1024Ell21rocsparse_complex_numIfES2_EEvT0_PKT1_PKT3_PT2_l16rocsparse_order_,@function
_ZN9rocsparseL28csrmmnn_general_block_reduceILj1024Ell21rocsparse_complex_numIfES2_EEvT0_PKT1_PKT3_PT2_l16rocsparse_order_: ; @_ZN9rocsparseL28csrmmnn_general_block_reduceILj1024Ell21rocsparse_complex_numIfES2_EEvT0_PKT1_PKT3_PT2_l16rocsparse_order_
; %bb.0:
	s_load_dwordx2 s[34:35], s[4:5], 0x0
	v_mov_b32_e32 v1, 0
	v_mov_b32_e32 v2, -1
	v_lshlrev_b32_e32 v10, 3, v0
	v_mov_b32_e32 v3, v2
	s_mov_b32 s7, 0
	v_mov_b32_e32 v4, v1
	v_mov_b32_e32 v5, v1
	s_waitcnt lgkmcnt(0)
	v_cmp_gt_i64_e32 vcc, s[34:35], v[0:1]
	ds_write2st64_b64 v10, v[2:3], v[4:5] offset1:16
	s_waitcnt lgkmcnt(0)
	s_barrier
	s_and_saveexec_b64 s[0:1], vcc
	s_cbranch_execz .LBB11_51
; %bb.1:
	s_load_dwordx8 s[24:31], s[4:5], 0x8
	s_load_dword s36, s[4:5], 0x28
	s_lshl_b64 s[2:3], s[6:7], 3
	s_movk_i32 s7, 0x7f
	v_cmp_lt_u32_e64 s[14:15], s7, v0
	s_movk_i32 s7, 0xff
	s_waitcnt lgkmcnt(0)
	s_add_u32 s33, s28, s2
	v_cmp_lt_u32_e64 s[16:17], s7, v0
	s_movk_i32 s7, 0x1ff
	s_addc_u32 s38, s29, s3
	v_cmp_lt_u32_e64 s[18:19], s7, v0
	s_movk_i32 s7, 0x3ff
	v_cmp_ne_u32_e64 s[20:21], s7, v0
	s_cmp_lg_u32 s36, 1
	s_mul_i32 s7, s6, s31
	s_mul_hi_u32 s39, s6, s30
	s_cselect_b64 s[36:37], -1, 0
	s_add_i32 s41, s39, s7
	s_mul_i32 s40, s6, s30
	s_lshl_b64 s[40:41], s[40:41], 3
	s_add_u32 s28, s28, s40
	s_mul_i32 s7, s35, s6
	s_mul_hi_u32 s39, s34, s6
	s_addc_u32 s29, s29, s41
	s_add_i32 s7, s39, s7
	s_mul_i32 s6, s34, s6
	s_lshl_b64 s[6:7], s[6:7], 3
	s_add_u32 s6, s26, s6
	v_lshlrev_b32_e32 v4, 3, v0
	s_addc_u32 s7, s27, s7
	v_mov_b32_e32 v3, s7
	v_add_co_u32_e32 v2, vcc, s6, v4
	v_addc_co_u32_e32 v3, vcc, 0, v3, vcc
	v_or_b32_e32 v11, 0x2000, v10
	v_mov_b32_e32 v5, s25
	v_add_co_u32_e32 v4, vcc, s24, v4
	v_cmp_ne_u32_e64 s[0:1], 0, v0
	v_add_u32_e32 v12, -8, v10
	v_add_u32_e32 v13, -8, v11
	v_cmp_lt_u32_e64 s[2:3], 1, v0
	v_add_u32_e32 v14, -16, v10
	v_add_u32_e32 v15, -16, v11
	v_cmp_lt_u32_e64 s[4:5], 3, v0
	v_subrev_u32_e32 v16, 32, v10
	v_subrev_u32_e32 v17, 32, v11
	v_cmp_lt_u32_e64 s[22:23], 7, v0
	v_subrev_u32_e32 v18, 64, v10
	v_subrev_u32_e32 v19, 64, v11
	v_cmp_lt_u32_e64 s[8:9], 15, v0
	v_add_u32_e32 v20, 0xffffff80, v10
	v_add_u32_e32 v21, 0xffffff80, v11
	v_cmp_lt_u32_e64 s[10:11], 31, v0
	v_add_u32_e32 v22, 0xffffff00, v10
	v_add_u32_e32 v23, 0xffffff00, v11
	;; [unrolled: 3-line block ×3, first 2 shown]
	v_add_u32_e32 v26, 0xfffffc00, v10
	v_add_u32_e32 v27, 0xfffffc00, v11
	;; [unrolled: 1-line block ×6, first 2 shown]
	v_addc_co_u32_e32 v5, vcc, 0, v5, vcc
	s_mov_b64 s[24:25], 0
	s_branch .LBB11_4
.LBB11_2:                               ;   in Loop: Header=BB11_4 Depth=1
	global_load_dwordx2 v[6:7], v[8:9], off
	ds_read_b64 v[32:33], v11
	s_waitcnt vmcnt(0) lgkmcnt(0)
	v_pk_add_f32 v[6:7], v[32:33], v[6:7]
	global_store_dwordx2 v[8:9], v[6:7], off
.LBB11_3:                               ;   in Loop: Header=BB11_4 Depth=1
	s_or_b64 exec, exec, s[6:7]
	v_add_co_u32_e32 v0, vcc, 0x400, v0
	v_addc_co_u32_e32 v1, vcc, 0, v1, vcc
	v_add_co_u32_e32 v2, vcc, 0x2000, v2
	v_addc_co_u32_e32 v3, vcc, 0, v3, vcc
	v_add_co_u32_e32 v4, vcc, 0x2000, v4
	v_cmp_le_i64_e64 s[6:7], s[34:35], v[0:1]
	s_or_b64 s[24:25], s[6:7], s[24:25]
	v_addc_co_u32_e32 v5, vcc, 0, v5, vcc
	s_barrier
	s_andn2_b64 exec, exec, s[24:25]
	s_cbranch_execz .LBB11_51
.LBB11_4:                               ; =>This Inner Loop Header: Depth=1
	global_load_dwordx2 v[32:33], v[4:5], off
	global_load_dwordx2 v[34:35], v[2:3], off
	v_mov_b32_e32 v6, 0
	v_mov_b32_e32 v8, 0
	;; [unrolled: 1-line block ×3, first 2 shown]
	s_waitcnt vmcnt(1)
	ds_write_b64 v10, v[32:33]
	s_waitcnt vmcnt(0)
	ds_write_b64 v11, v[34:35]
	s_waitcnt lgkmcnt(0)
	s_barrier
	s_and_saveexec_b64 s[6:7], s[0:1]
	s_cbranch_execz .LBB11_8
; %bb.5:                                ;   in Loop: Header=BB11_4 Depth=1
	ds_read2_b64 v[32:35], v12 offset1:1
	v_mov_b32_e32 v9, 0
	v_mov_b32_e32 v8, 0
	s_waitcnt lgkmcnt(0)
	v_cmp_eq_u64_e32 vcc, v[34:35], v[32:33]
	s_and_saveexec_b64 s[26:27], vcc
	s_cbranch_execz .LBB11_7
; %bb.6:                                ;   in Loop: Header=BB11_4 Depth=1
	ds_read_b64 v[8:9], v13
.LBB11_7:                               ;   in Loop: Header=BB11_4 Depth=1
	s_or_b64 exec, exec, s[26:27]
.LBB11_8:                               ;   in Loop: Header=BB11_4 Depth=1
	s_or_b64 exec, exec, s[6:7]
	s_waitcnt lgkmcnt(0)
	s_barrier
	ds_read_b64 v[32:33], v11
	v_mov_b32_e32 v7, 0
	s_waitcnt lgkmcnt(0)
	v_pk_add_f32 v[8:9], v[8:9], v[32:33]
	ds_write_b64 v11, v[8:9]
	s_waitcnt lgkmcnt(0)
	s_barrier
	s_and_saveexec_b64 s[6:7], s[2:3]
	s_cbranch_execz .LBB11_12
; %bb.9:                                ;   in Loop: Header=BB11_4 Depth=1
	ds_read_b64 v[8:9], v10
	ds_read_b64 v[32:33], v14
	v_mov_b32_e32 v7, 0
	v_mov_b32_e32 v6, 0
	s_waitcnt lgkmcnt(0)
	v_cmp_eq_u64_e32 vcc, v[8:9], v[32:33]
	s_and_saveexec_b64 s[26:27], vcc
	s_cbranch_execz .LBB11_11
; %bb.10:                               ;   in Loop: Header=BB11_4 Depth=1
	ds_read_b64 v[6:7], v15
.LBB11_11:                              ;   in Loop: Header=BB11_4 Depth=1
	s_or_b64 exec, exec, s[26:27]
.LBB11_12:                              ;   in Loop: Header=BB11_4 Depth=1
	s_or_b64 exec, exec, s[6:7]
	s_waitcnt lgkmcnt(0)
	s_barrier
	ds_read_b64 v[8:9], v11
	s_waitcnt lgkmcnt(0)
	v_pk_add_f32 v[6:7], v[6:7], v[8:9]
	ds_write_b64 v11, v[6:7]
	v_mov_b32_e32 v6, 0
	v_mov_b32_e32 v8, 0
	v_mov_b32_e32 v9, 0
	s_waitcnt lgkmcnt(0)
	s_barrier
	s_and_saveexec_b64 s[6:7], s[4:5]
	s_cbranch_execz .LBB11_16
; %bb.13:                               ;   in Loop: Header=BB11_4 Depth=1
	ds_read_b64 v[32:33], v10
	ds_read_b64 v[34:35], v16
	v_mov_b32_e32 v9, 0
	v_mov_b32_e32 v8, 0
	s_waitcnt lgkmcnt(0)
	v_cmp_eq_u64_e32 vcc, v[32:33], v[34:35]
	s_and_saveexec_b64 s[26:27], vcc
	s_cbranch_execz .LBB11_15
; %bb.14:                               ;   in Loop: Header=BB11_4 Depth=1
	ds_read_b64 v[8:9], v17
.LBB11_15:                              ;   in Loop: Header=BB11_4 Depth=1
	s_or_b64 exec, exec, s[26:27]
.LBB11_16:                              ;   in Loop: Header=BB11_4 Depth=1
	s_or_b64 exec, exec, s[6:7]
	s_waitcnt lgkmcnt(0)
	s_barrier
	ds_read_b64 v[32:33], v11
	v_mov_b32_e32 v7, 0
	s_waitcnt lgkmcnt(0)
	v_pk_add_f32 v[8:9], v[8:9], v[32:33]
	ds_write_b64 v11, v[8:9]
	s_waitcnt lgkmcnt(0)
	s_barrier
	s_and_saveexec_b64 s[6:7], s[22:23]
	s_cbranch_execz .LBB11_20
; %bb.17:                               ;   in Loop: Header=BB11_4 Depth=1
	ds_read_b64 v[8:9], v10
	ds_read_b64 v[32:33], v18
	v_mov_b32_e32 v7, 0
	v_mov_b32_e32 v6, 0
	s_waitcnt lgkmcnt(0)
	v_cmp_eq_u64_e32 vcc, v[8:9], v[32:33]
	s_and_saveexec_b64 s[26:27], vcc
	s_cbranch_execz .LBB11_19
; %bb.18:                               ;   in Loop: Header=BB11_4 Depth=1
	ds_read_b64 v[6:7], v19
.LBB11_19:                              ;   in Loop: Header=BB11_4 Depth=1
	s_or_b64 exec, exec, s[26:27]
.LBB11_20:                              ;   in Loop: Header=BB11_4 Depth=1
	s_or_b64 exec, exec, s[6:7]
	s_waitcnt lgkmcnt(0)
	s_barrier
	ds_read_b64 v[8:9], v11
	s_waitcnt lgkmcnt(0)
	v_pk_add_f32 v[6:7], v[6:7], v[8:9]
	ds_write_b64 v11, v[6:7]
	v_mov_b32_e32 v6, 0
	v_mov_b32_e32 v8, 0
	v_mov_b32_e32 v9, 0
	s_waitcnt lgkmcnt(0)
	s_barrier
	s_and_saveexec_b64 s[6:7], s[8:9]
	s_cbranch_execz .LBB11_24
; %bb.21:                               ;   in Loop: Header=BB11_4 Depth=1
	ds_read_b64 v[32:33], v10
	ds_read_b64 v[34:35], v20
	v_mov_b32_e32 v9, 0
	v_mov_b32_e32 v8, 0
	s_waitcnt lgkmcnt(0)
	v_cmp_eq_u64_e32 vcc, v[32:33], v[34:35]
	s_and_saveexec_b64 s[26:27], vcc
	s_cbranch_execz .LBB11_23
; %bb.22:                               ;   in Loop: Header=BB11_4 Depth=1
	ds_read_b64 v[8:9], v21
.LBB11_23:                              ;   in Loop: Header=BB11_4 Depth=1
	s_or_b64 exec, exec, s[26:27]
.LBB11_24:                              ;   in Loop: Header=BB11_4 Depth=1
	s_or_b64 exec, exec, s[6:7]
	s_waitcnt lgkmcnt(0)
	s_barrier
	ds_read_b64 v[32:33], v11
	v_mov_b32_e32 v7, 0
	s_waitcnt lgkmcnt(0)
	v_pk_add_f32 v[8:9], v[8:9], v[32:33]
	ds_write_b64 v11, v[8:9]
	s_waitcnt lgkmcnt(0)
	s_barrier
	s_and_saveexec_b64 s[6:7], s[10:11]
	s_cbranch_execz .LBB11_28
; %bb.25:                               ;   in Loop: Header=BB11_4 Depth=1
	ds_read_b64 v[8:9], v10
	ds_read_b64 v[32:33], v22
	v_mov_b32_e32 v7, 0
	v_mov_b32_e32 v6, 0
	s_waitcnt lgkmcnt(0)
	v_cmp_eq_u64_e32 vcc, v[8:9], v[32:33]
	s_and_saveexec_b64 s[26:27], vcc
	s_cbranch_execz .LBB11_27
; %bb.26:                               ;   in Loop: Header=BB11_4 Depth=1
	ds_read_b64 v[6:7], v23
.LBB11_27:                              ;   in Loop: Header=BB11_4 Depth=1
	s_or_b64 exec, exec, s[26:27]
.LBB11_28:                              ;   in Loop: Header=BB11_4 Depth=1
	;; [unrolled: 54-line block ×4, first 2 shown]
	s_or_b64 exec, exec, s[6:7]
	s_waitcnt lgkmcnt(0)
	s_barrier
	ds_read_b64 v[8:9], v11
	s_waitcnt lgkmcnt(0)
	v_pk_add_f32 v[6:7], v[6:7], v[8:9]
	ds_write_b64 v11, v[6:7]
	s_waitcnt lgkmcnt(0)
	s_barrier
	ds_read_b64 v[6:7], v10
	v_pk_mov_b32 v[8:9], -1, -1
	s_and_saveexec_b64 s[6:7], s[20:21]
	s_cbranch_execz .LBB11_46
; %bb.45:                               ;   in Loop: Header=BB11_4 Depth=1
	ds_read_b64 v[8:9], v10 offset:8
.LBB11_46:                              ;   in Loop: Header=BB11_4 Depth=1
	s_or_b64 exec, exec, s[6:7]
	s_waitcnt lgkmcnt(0)
	v_cmp_ne_u64_e32 vcc, v[6:7], v[8:9]
	v_cmp_lt_i64_e64 s[6:7], -1, v[6:7]
	s_and_b64 s[26:27], s[6:7], vcc
	s_and_saveexec_b64 s[6:7], s[26:27]
	s_cbranch_execz .LBB11_3
; %bb.47:                               ;   in Loop: Header=BB11_4 Depth=1
	s_and_b64 vcc, exec, s[36:37]
	s_cbranch_vccz .LBB11_49
; %bb.48:                               ;   in Loop: Header=BB11_4 Depth=1
	v_mul_lo_u32 v32, v7, s30
	v_mul_lo_u32 v33, v6, s31
	v_mad_u64_u32 v[8:9], s[26:27], v6, s30, 0
	v_add3_u32 v9, v9, v33, v32
	v_lshlrev_b64 v[8:9], 3, v[8:9]
	v_mov_b32_e32 v32, s38
	v_add_co_u32_e32 v8, vcc, s33, v8
	v_addc_co_u32_e32 v9, vcc, v32, v9, vcc
	s_cbranch_execnz .LBB11_2
	s_branch .LBB11_50
.LBB11_49:                              ;   in Loop: Header=BB11_4 Depth=1
                                        ; implicit-def: $vgpr8_vgpr9
.LBB11_50:                              ;   in Loop: Header=BB11_4 Depth=1
	v_lshlrev_b64 v[6:7], 3, v[6:7]
	v_mov_b32_e32 v9, s29
	v_add_co_u32_e32 v8, vcc, s28, v6
	v_addc_co_u32_e32 v9, vcc, v9, v7, vcc
	s_branch .LBB11_2
.LBB11_51:
	s_endpgm
	.section	.rodata,"a",@progbits
	.p2align	6, 0x0
	.amdhsa_kernel _ZN9rocsparseL28csrmmnn_general_block_reduceILj1024Ell21rocsparse_complex_numIfES2_EEvT0_PKT1_PKT3_PT2_l16rocsparse_order_
		.amdhsa_group_segment_fixed_size 16384
		.amdhsa_private_segment_fixed_size 0
		.amdhsa_kernarg_size 44
		.amdhsa_user_sgpr_count 6
		.amdhsa_user_sgpr_private_segment_buffer 1
		.amdhsa_user_sgpr_dispatch_ptr 0
		.amdhsa_user_sgpr_queue_ptr 0
		.amdhsa_user_sgpr_kernarg_segment_ptr 1
		.amdhsa_user_sgpr_dispatch_id 0
		.amdhsa_user_sgpr_flat_scratch_init 0
		.amdhsa_user_sgpr_kernarg_preload_length 0
		.amdhsa_user_sgpr_kernarg_preload_offset 0
		.amdhsa_user_sgpr_private_segment_size 0
		.amdhsa_uses_dynamic_stack 0
		.amdhsa_system_sgpr_private_segment_wavefront_offset 0
		.amdhsa_system_sgpr_workgroup_id_x 1
		.amdhsa_system_sgpr_workgroup_id_y 0
		.amdhsa_system_sgpr_workgroup_id_z 0
		.amdhsa_system_sgpr_workgroup_info 0
		.amdhsa_system_vgpr_workitem_id 0
		.amdhsa_next_free_vgpr 36
		.amdhsa_next_free_sgpr 42
		.amdhsa_accum_offset 36
		.amdhsa_reserve_vcc 1
		.amdhsa_reserve_flat_scratch 0
		.amdhsa_float_round_mode_32 0
		.amdhsa_float_round_mode_16_64 0
		.amdhsa_float_denorm_mode_32 3
		.amdhsa_float_denorm_mode_16_64 3
		.amdhsa_dx10_clamp 1
		.amdhsa_ieee_mode 1
		.amdhsa_fp16_overflow 0
		.amdhsa_tg_split 0
		.amdhsa_exception_fp_ieee_invalid_op 0
		.amdhsa_exception_fp_denorm_src 0
		.amdhsa_exception_fp_ieee_div_zero 0
		.amdhsa_exception_fp_ieee_overflow 0
		.amdhsa_exception_fp_ieee_underflow 0
		.amdhsa_exception_fp_ieee_inexact 0
		.amdhsa_exception_int_div_zero 0
	.end_amdhsa_kernel
	.section	.text._ZN9rocsparseL28csrmmnn_general_block_reduceILj1024Ell21rocsparse_complex_numIfES2_EEvT0_PKT1_PKT3_PT2_l16rocsparse_order_,"axG",@progbits,_ZN9rocsparseL28csrmmnn_general_block_reduceILj1024Ell21rocsparse_complex_numIfES2_EEvT0_PKT1_PKT3_PT2_l16rocsparse_order_,comdat
.Lfunc_end11:
	.size	_ZN9rocsparseL28csrmmnn_general_block_reduceILj1024Ell21rocsparse_complex_numIfES2_EEvT0_PKT1_PKT3_PT2_l16rocsparse_order_, .Lfunc_end11-_ZN9rocsparseL28csrmmnn_general_block_reduceILj1024Ell21rocsparse_complex_numIfES2_EEvT0_PKT1_PKT3_PT2_l16rocsparse_order_
                                        ; -- End function
	.section	.AMDGPU.csdata,"",@progbits
; Kernel info:
; codeLenInByte = 1900
; NumSgprs: 46
; NumVgprs: 36
; NumAgprs: 0
; TotalNumVgprs: 36
; ScratchSize: 0
; MemoryBound: 0
; FloatMode: 240
; IeeeMode: 1
; LDSByteSize: 16384 bytes/workgroup (compile time only)
; SGPRBlocks: 5
; VGPRBlocks: 4
; NumSGPRsForWavesPerEU: 46
; NumVGPRsForWavesPerEU: 36
; AccumOffset: 36
; Occupancy: 8
; WaveLimiterHint : 0
; COMPUTE_PGM_RSRC2:SCRATCH_EN: 0
; COMPUTE_PGM_RSRC2:USER_SGPR: 6
; COMPUTE_PGM_RSRC2:TRAP_HANDLER: 0
; COMPUTE_PGM_RSRC2:TGID_X_EN: 1
; COMPUTE_PGM_RSRC2:TGID_Y_EN: 0
; COMPUTE_PGM_RSRC2:TGID_Z_EN: 0
; COMPUTE_PGM_RSRC2:TIDIG_COMP_CNT: 0
; COMPUTE_PGM_RSRC3_GFX90A:ACCUM_OFFSET: 8
; COMPUTE_PGM_RSRC3_GFX90A:TG_SPLIT: 0
	.section	.text._ZN9rocsparseL28csrmmnn_general_block_reduceILj1024Eii21rocsparse_complex_numIdES2_EEvT0_PKT1_PKT3_PT2_l16rocsparse_order_,"axG",@progbits,_ZN9rocsparseL28csrmmnn_general_block_reduceILj1024Eii21rocsparse_complex_numIdES2_EEvT0_PKT1_PKT3_PT2_l16rocsparse_order_,comdat
	.globl	_ZN9rocsparseL28csrmmnn_general_block_reduceILj1024Eii21rocsparse_complex_numIdES2_EEvT0_PKT1_PKT3_PT2_l16rocsparse_order_ ; -- Begin function _ZN9rocsparseL28csrmmnn_general_block_reduceILj1024Eii21rocsparse_complex_numIdES2_EEvT0_PKT1_PKT3_PT2_l16rocsparse_order_
	.p2align	8
	.type	_ZN9rocsparseL28csrmmnn_general_block_reduceILj1024Eii21rocsparse_complex_numIdES2_EEvT0_PKT1_PKT3_PT2_l16rocsparse_order_,@function
_ZN9rocsparseL28csrmmnn_general_block_reduceILj1024Eii21rocsparse_complex_numIdES2_EEvT0_PKT1_PKT3_PT2_l16rocsparse_order_: ; @_ZN9rocsparseL28csrmmnn_general_block_reduceILj1024Eii21rocsparse_complex_numIdES2_EEvT0_PKT1_PKT3_PT2_l16rocsparse_order_
; %bb.0:
	s_load_dword s33, s[4:5], 0x0
	v_lshlrev_b32_e32 v1, 2, v0
	v_mov_b32_e32 v2, -1
	v_mov_b32_e32 v3, 0
	ds_write_b32 v1, v2 offset:16384
	v_lshlrev_b32_e32 v12, 4, v0
	v_mov_b32_e32 v2, v3
	v_mov_b32_e32 v4, v3
	;; [unrolled: 1-line block ×3, first 2 shown]
	s_waitcnt lgkmcnt(0)
	v_cmp_gt_i32_e32 vcc, s33, v0
	ds_write_b128 v12, v[2:5]
	s_waitcnt lgkmcnt(0)
	s_barrier
	s_and_saveexec_b64 s[0:1], vcc
	s_cbranch_execz .LBB12_51
; %bb.1:
	s_load_dword s7, s[4:5], 0x28
	s_load_dwordx8 s[24:31], s[4:5], 0x8
	s_mul_i32 s38, s6, s33
	v_or_b32_e32 v13, 0x4000, v1
	s_movk_i32 s14, 0x7f
	s_waitcnt lgkmcnt(0)
	s_cmp_lg_u32 s7, 1
	s_cselect_b64 s[34:35], -1, 0
	s_ashr_i32 s7, s6, 31
	s_lshl_b64 s[36:37], s[6:7], 4
	s_add_u32 s39, s28, s36
	s_addc_u32 s40, s29, s37
	s_mul_i32 s36, s6, s31
	s_mul_hi_u32 s37, s6, s30
	s_add_i32 s36, s37, s36
	s_mul_i32 s7, s7, s30
	s_add_i32 s7, s36, s7
	s_mul_i32 s6, s6, s30
	s_lshl_b64 s[6:7], s[6:7], 4
	s_movk_i32 s16, 0xff
	s_movk_i32 s18, 0x1ff
	;; [unrolled: 1-line block ×3, first 2 shown]
	s_add_u32 s41, s28, s6
	v_cmp_ne_u32_e64 s[0:1], 0, v0
	v_add_u32_e32 v14, -4, v13
	v_add_u32_e32 v15, -16, v12
	v_cmp_lt_u32_e64 s[2:3], 1, v0
	v_add_u32_e32 v16, -8, v13
	v_subrev_u32_e32 v17, 32, v12
	v_cmp_lt_u32_e64 s[4:5], 3, v0
	v_add_u32_e32 v18, -16, v13
	v_subrev_u32_e32 v19, 64, v12
	v_cmp_lt_u32_e64 s[22:23], 7, v0
	v_subrev_u32_e32 v20, 32, v13
	v_add_u32_e32 v21, 0xffffff80, v12
	v_cmp_lt_u32_e64 s[8:9], 15, v0
	v_subrev_u32_e32 v22, 64, v13
	v_add_u32_e32 v23, 0xffffff00, v12
	v_cmp_lt_u32_e64 s[10:11], 31, v0
	v_add_u32_e32 v24, 0xffffff80, v13
	v_add_u32_e32 v25, 0xfffffe00, v12
	v_cmp_lt_u32_e64 s[12:13], 63, v0
	v_add_u32_e32 v26, 0xffffff00, v13
	;; [unrolled: 3-line block ×5, first 2 shown]
	v_add_u32_e32 v33, 0xffffe000, v12
	v_cmp_ne_u32_e64 s[20:21], s20, v0
	s_addc_u32 s42, s29, s7
	s_mov_b64 s[28:29], 0
	v_mov_b32_e32 v34, s25
	v_mov_b32_e32 v35, s27
	s_branch .LBB12_4
.LBB12_2:                               ;   in Loop: Header=BB12_4 Depth=1
	global_load_dwordx4 v[6:9], v[4:5], off
	ds_read_b128 v[36:39], v12
	s_waitcnt vmcnt(0) lgkmcnt(0)
	v_add_f64 v[6:7], v[36:37], v[6:7]
	v_add_f64 v[8:9], v[38:39], v[8:9]
	global_store_dwordx4 v[4:5], v[6:9], off
.LBB12_3:                               ;   in Loop: Header=BB12_4 Depth=1
	s_or_b64 exec, exec, s[6:7]
	v_add_u32_e32 v0, 0x400, v0
	v_cmp_le_i32_e32 vcc, s33, v0
	s_or_b64 s[28:29], vcc, s[28:29]
	s_barrier
	s_andn2_b64 exec, exec, s[28:29]
	s_cbranch_execz .LBB12_51
.LBB12_4:                               ; =>This Inner Loop Header: Depth=1
	v_ashrrev_i32_e32 v1, 31, v0
	v_lshlrev_b64 v[4:5], 2, v[0:1]
	v_add_co_u32_e32 v4, vcc, s24, v4
	v_addc_co_u32_e32 v5, vcc, v34, v5, vcc
	global_load_dword v1, v[4:5], off
	v_add_u32_e32 v4, s38, v0
	v_ashrrev_i32_e32 v5, 31, v4
	v_lshlrev_b64 v[4:5], 4, v[4:5]
	v_add_co_u32_e32 v4, vcc, s26, v4
	v_addc_co_u32_e32 v5, vcc, v35, v5, vcc
	global_load_dwordx4 v[36:39], v[4:5], off
	v_pk_mov_b32 v[6:7], 0, 0
	v_pk_mov_b32 v[10:11], v[6:7], v[6:7] op_sel:[0,1]
	v_pk_mov_b32 v[8:9], v[6:7], v[6:7] op_sel:[0,1]
	s_waitcnt vmcnt(1)
	ds_write_b32 v13, v1
	s_waitcnt vmcnt(0)
	ds_write2_b64 v12, v[36:37], v[38:39] offset1:1
	s_waitcnt lgkmcnt(0)
	s_barrier
	s_and_saveexec_b64 s[6:7], s[0:1]
	s_cbranch_execz .LBB12_8
; %bb.5:                                ;   in Loop: Header=BB12_4 Depth=1
	ds_read2_b32 v[4:5], v14 offset1:1
	v_pk_mov_b32 v[8:9], 0, 0
	v_pk_mov_b32 v[10:11], v[8:9], v[8:9] op_sel:[0,1]
	s_waitcnt lgkmcnt(0)
	v_cmp_eq_u32_e32 vcc, v5, v4
	s_and_saveexec_b64 s[36:37], vcc
	s_cbranch_execz .LBB12_7
; %bb.6:                                ;   in Loop: Header=BB12_4 Depth=1
	ds_read_b128 v[8:11], v15
.LBB12_7:                               ;   in Loop: Header=BB12_4 Depth=1
	s_or_b64 exec, exec, s[36:37]
.LBB12_8:                               ;   in Loop: Header=BB12_4 Depth=1
	s_or_b64 exec, exec, s[6:7]
	s_waitcnt lgkmcnt(0)
	s_barrier
	ds_read_b128 v[36:39], v12
	v_pk_mov_b32 v[4:5], v[6:7], v[6:7] op_sel:[0,1]
	s_waitcnt lgkmcnt(0)
	v_add_f64 v[8:9], v[8:9], v[36:37]
	v_add_f64 v[10:11], v[10:11], v[38:39]
	ds_write_b128 v12, v[8:11]
	s_waitcnt lgkmcnt(0)
	s_barrier
	s_and_saveexec_b64 s[6:7], s[2:3]
	s_cbranch_execz .LBB12_12
; %bb.9:                                ;   in Loop: Header=BB12_4 Depth=1
	ds_read_b32 v1, v13
	ds_read_b32 v2, v16
	v_pk_mov_b32 v[4:5], 0, 0
	v_pk_mov_b32 v[6:7], v[4:5], v[4:5] op_sel:[0,1]
	s_waitcnt lgkmcnt(0)
	v_cmp_eq_u32_e32 vcc, v1, v2
	s_and_saveexec_b64 s[36:37], vcc
	s_cbranch_execz .LBB12_11
; %bb.10:                               ;   in Loop: Header=BB12_4 Depth=1
	ds_read_b128 v[4:7], v17
.LBB12_11:                              ;   in Loop: Header=BB12_4 Depth=1
	s_or_b64 exec, exec, s[36:37]
.LBB12_12:                              ;   in Loop: Header=BB12_4 Depth=1
	s_or_b64 exec, exec, s[6:7]
	s_waitcnt lgkmcnt(0)
	s_barrier
	ds_read_b128 v[8:11], v12
	s_waitcnt lgkmcnt(0)
	v_add_f64 v[4:5], v[4:5], v[8:9]
	v_add_f64 v[6:7], v[6:7], v[10:11]
	ds_write_b128 v12, v[4:7]
	v_pk_mov_b32 v[6:7], 0, 0
	v_pk_mov_b32 v[10:11], v[6:7], v[6:7] op_sel:[0,1]
	v_pk_mov_b32 v[8:9], v[6:7], v[6:7] op_sel:[0,1]
	s_waitcnt lgkmcnt(0)
	s_barrier
	s_and_saveexec_b64 s[6:7], s[4:5]
	s_cbranch_execz .LBB12_16
; %bb.13:                               ;   in Loop: Header=BB12_4 Depth=1
	ds_read_b32 v1, v13
	ds_read_b32 v2, v18
	v_pk_mov_b32 v[8:9], 0, 0
	v_pk_mov_b32 v[10:11], v[8:9], v[8:9] op_sel:[0,1]
	s_waitcnt lgkmcnt(0)
	v_cmp_eq_u32_e32 vcc, v1, v2
	s_and_saveexec_b64 s[36:37], vcc
	s_cbranch_execz .LBB12_15
; %bb.14:                               ;   in Loop: Header=BB12_4 Depth=1
	ds_read_b128 v[8:11], v19
.LBB12_15:                              ;   in Loop: Header=BB12_4 Depth=1
	s_or_b64 exec, exec, s[36:37]
.LBB12_16:                              ;   in Loop: Header=BB12_4 Depth=1
	s_or_b64 exec, exec, s[6:7]
	s_waitcnt lgkmcnt(0)
	s_barrier
	ds_read_b128 v[36:39], v12
	v_pk_mov_b32 v[4:5], v[6:7], v[6:7] op_sel:[0,1]
	s_waitcnt lgkmcnt(0)
	v_add_f64 v[8:9], v[8:9], v[36:37]
	v_add_f64 v[10:11], v[10:11], v[38:39]
	ds_write_b128 v12, v[8:11]
	s_waitcnt lgkmcnt(0)
	s_barrier
	s_and_saveexec_b64 s[6:7], s[22:23]
	s_cbranch_execz .LBB12_20
; %bb.17:                               ;   in Loop: Header=BB12_4 Depth=1
	ds_read_b32 v1, v13
	ds_read_b32 v2, v20
	v_pk_mov_b32 v[4:5], 0, 0
	v_pk_mov_b32 v[6:7], v[4:5], v[4:5] op_sel:[0,1]
	s_waitcnt lgkmcnt(0)
	v_cmp_eq_u32_e32 vcc, v1, v2
	s_and_saveexec_b64 s[36:37], vcc
	s_cbranch_execz .LBB12_19
; %bb.18:                               ;   in Loop: Header=BB12_4 Depth=1
	ds_read_b128 v[4:7], v21
.LBB12_19:                              ;   in Loop: Header=BB12_4 Depth=1
	s_or_b64 exec, exec, s[36:37]
.LBB12_20:                              ;   in Loop: Header=BB12_4 Depth=1
	s_or_b64 exec, exec, s[6:7]
	s_waitcnt lgkmcnt(0)
	s_barrier
	ds_read_b128 v[8:11], v12
	s_waitcnt lgkmcnt(0)
	v_add_f64 v[4:5], v[4:5], v[8:9]
	v_add_f64 v[6:7], v[6:7], v[10:11]
	ds_write_b128 v12, v[4:7]
	v_pk_mov_b32 v[6:7], 0, 0
	v_pk_mov_b32 v[10:11], v[6:7], v[6:7] op_sel:[0,1]
	v_pk_mov_b32 v[8:9], v[6:7], v[6:7] op_sel:[0,1]
	s_waitcnt lgkmcnt(0)
	s_barrier
	s_and_saveexec_b64 s[6:7], s[8:9]
	s_cbranch_execz .LBB12_24
; %bb.21:                               ;   in Loop: Header=BB12_4 Depth=1
	ds_read_b32 v1, v13
	ds_read_b32 v2, v22
	v_pk_mov_b32 v[8:9], 0, 0
	v_pk_mov_b32 v[10:11], v[8:9], v[8:9] op_sel:[0,1]
	s_waitcnt lgkmcnt(0)
	v_cmp_eq_u32_e32 vcc, v1, v2
	s_and_saveexec_b64 s[36:37], vcc
	s_cbranch_execz .LBB12_23
; %bb.22:                               ;   in Loop: Header=BB12_4 Depth=1
	ds_read_b128 v[8:11], v23
.LBB12_23:                              ;   in Loop: Header=BB12_4 Depth=1
	s_or_b64 exec, exec, s[36:37]
.LBB12_24:                              ;   in Loop: Header=BB12_4 Depth=1
	s_or_b64 exec, exec, s[6:7]
	s_waitcnt lgkmcnt(0)
	s_barrier
	ds_read_b128 v[36:39], v12
	v_pk_mov_b32 v[4:5], v[6:7], v[6:7] op_sel:[0,1]
	s_waitcnt lgkmcnt(0)
	v_add_f64 v[8:9], v[8:9], v[36:37]
	v_add_f64 v[10:11], v[10:11], v[38:39]
	ds_write_b128 v12, v[8:11]
	s_waitcnt lgkmcnt(0)
	s_barrier
	s_and_saveexec_b64 s[6:7], s[10:11]
	s_cbranch_execz .LBB12_28
; %bb.25:                               ;   in Loop: Header=BB12_4 Depth=1
	ds_read_b32 v1, v13
	ds_read_b32 v2, v24
	v_pk_mov_b32 v[4:5], 0, 0
	v_pk_mov_b32 v[6:7], v[4:5], v[4:5] op_sel:[0,1]
	s_waitcnt lgkmcnt(0)
	v_cmp_eq_u32_e32 vcc, v1, v2
	s_and_saveexec_b64 s[36:37], vcc
	s_cbranch_execz .LBB12_27
; %bb.26:                               ;   in Loop: Header=BB12_4 Depth=1
	ds_read_b128 v[4:7], v25
.LBB12_27:                              ;   in Loop: Header=BB12_4 Depth=1
	s_or_b64 exec, exec, s[36:37]
.LBB12_28:                              ;   in Loop: Header=BB12_4 Depth=1
	;; [unrolled: 56-line block ×4, first 2 shown]
	s_or_b64 exec, exec, s[6:7]
	s_waitcnt lgkmcnt(0)
	s_barrier
	ds_read_b128 v[8:11], v12
	v_mov_b32_e32 v1, -1
	s_waitcnt lgkmcnt(0)
	v_add_f64 v[4:5], v[4:5], v[8:9]
	v_add_f64 v[6:7], v[6:7], v[10:11]
	ds_write_b128 v12, v[4:7]
	s_waitcnt lgkmcnt(0)
	s_barrier
	ds_read_b32 v2, v13
	s_and_saveexec_b64 s[6:7], s[20:21]
	s_cbranch_execz .LBB12_46
; %bb.45:                               ;   in Loop: Header=BB12_4 Depth=1
	ds_read_b32 v1, v13 offset:4
.LBB12_46:                              ;   in Loop: Header=BB12_4 Depth=1
	s_or_b64 exec, exec, s[6:7]
	s_waitcnt lgkmcnt(0)
	v_cmp_ne_u32_e32 vcc, v2, v1
	v_cmp_lt_i32_e64 s[6:7], -1, v2
	s_and_b64 s[36:37], s[6:7], vcc
	s_and_saveexec_b64 s[6:7], s[36:37]
	s_cbranch_execz .LBB12_3
; %bb.47:                               ;   in Loop: Header=BB12_4 Depth=1
	s_and_b64 vcc, exec, s[34:35]
	s_cbranch_vccz .LBB12_49
; %bb.48:                               ;   in Loop: Header=BB12_4 Depth=1
	v_mad_u64_u32 v[4:5], s[36:37], v2, s30, 0
	v_mov_b32_e32 v6, v5
	v_mad_u64_u32 v[6:7], s[36:37], v2, s31, v[6:7]
	v_mov_b32_e32 v5, v6
	v_lshlrev_b64 v[4:5], 4, v[4:5]
	v_mov_b32_e32 v1, s40
	v_add_co_u32_e32 v4, vcc, s39, v4
	v_addc_co_u32_e32 v5, vcc, v1, v5, vcc
	s_cbranch_execnz .LBB12_2
	s_branch .LBB12_50
.LBB12_49:                              ;   in Loop: Header=BB12_4 Depth=1
                                        ; implicit-def: $vgpr4_vgpr5
.LBB12_50:                              ;   in Loop: Header=BB12_4 Depth=1
	v_lshlrev_b64 v[4:5], 4, v[2:3]
	v_mov_b32_e32 v1, s42
	v_add_co_u32_e32 v4, vcc, s41, v4
	v_addc_co_u32_e32 v5, vcc, v1, v5, vcc
	s_branch .LBB12_2
.LBB12_51:
	s_endpgm
	.section	.rodata,"a",@progbits
	.p2align	6, 0x0
	.amdhsa_kernel _ZN9rocsparseL28csrmmnn_general_block_reduceILj1024Eii21rocsparse_complex_numIdES2_EEvT0_PKT1_PKT3_PT2_l16rocsparse_order_
		.amdhsa_group_segment_fixed_size 20480
		.amdhsa_private_segment_fixed_size 0
		.amdhsa_kernarg_size 44
		.amdhsa_user_sgpr_count 6
		.amdhsa_user_sgpr_private_segment_buffer 1
		.amdhsa_user_sgpr_dispatch_ptr 0
		.amdhsa_user_sgpr_queue_ptr 0
		.amdhsa_user_sgpr_kernarg_segment_ptr 1
		.amdhsa_user_sgpr_dispatch_id 0
		.amdhsa_user_sgpr_flat_scratch_init 0
		.amdhsa_user_sgpr_kernarg_preload_length 0
		.amdhsa_user_sgpr_kernarg_preload_offset 0
		.amdhsa_user_sgpr_private_segment_size 0
		.amdhsa_uses_dynamic_stack 0
		.amdhsa_system_sgpr_private_segment_wavefront_offset 0
		.amdhsa_system_sgpr_workgroup_id_x 1
		.amdhsa_system_sgpr_workgroup_id_y 0
		.amdhsa_system_sgpr_workgroup_id_z 0
		.amdhsa_system_sgpr_workgroup_info 0
		.amdhsa_system_vgpr_workitem_id 0
		.amdhsa_next_free_vgpr 40
		.amdhsa_next_free_sgpr 43
		.amdhsa_accum_offset 40
		.amdhsa_reserve_vcc 1
		.amdhsa_reserve_flat_scratch 0
		.amdhsa_float_round_mode_32 0
		.amdhsa_float_round_mode_16_64 0
		.amdhsa_float_denorm_mode_32 3
		.amdhsa_float_denorm_mode_16_64 3
		.amdhsa_dx10_clamp 1
		.amdhsa_ieee_mode 1
		.amdhsa_fp16_overflow 0
		.amdhsa_tg_split 0
		.amdhsa_exception_fp_ieee_invalid_op 0
		.amdhsa_exception_fp_denorm_src 0
		.amdhsa_exception_fp_ieee_div_zero 0
		.amdhsa_exception_fp_ieee_overflow 0
		.amdhsa_exception_fp_ieee_underflow 0
		.amdhsa_exception_fp_ieee_inexact 0
		.amdhsa_exception_int_div_zero 0
	.end_amdhsa_kernel
	.section	.text._ZN9rocsparseL28csrmmnn_general_block_reduceILj1024Eii21rocsparse_complex_numIdES2_EEvT0_PKT1_PKT3_PT2_l16rocsparse_order_,"axG",@progbits,_ZN9rocsparseL28csrmmnn_general_block_reduceILj1024Eii21rocsparse_complex_numIdES2_EEvT0_PKT1_PKT3_PT2_l16rocsparse_order_,comdat
.Lfunc_end12:
	.size	_ZN9rocsparseL28csrmmnn_general_block_reduceILj1024Eii21rocsparse_complex_numIdES2_EEvT0_PKT1_PKT3_PT2_l16rocsparse_order_, .Lfunc_end12-_ZN9rocsparseL28csrmmnn_general_block_reduceILj1024Eii21rocsparse_complex_numIdES2_EEvT0_PKT1_PKT3_PT2_l16rocsparse_order_
                                        ; -- End function
	.section	.AMDGPU.csdata,"",@progbits
; Kernel info:
; codeLenInByte = 2124
; NumSgprs: 47
; NumVgprs: 40
; NumAgprs: 0
; TotalNumVgprs: 40
; ScratchSize: 0
; MemoryBound: 0
; FloatMode: 240
; IeeeMode: 1
; LDSByteSize: 20480 bytes/workgroup (compile time only)
; SGPRBlocks: 5
; VGPRBlocks: 4
; NumSGPRsForWavesPerEU: 47
; NumVGPRsForWavesPerEU: 40
; AccumOffset: 40
; Occupancy: 8
; WaveLimiterHint : 0
; COMPUTE_PGM_RSRC2:SCRATCH_EN: 0
; COMPUTE_PGM_RSRC2:USER_SGPR: 6
; COMPUTE_PGM_RSRC2:TRAP_HANDLER: 0
; COMPUTE_PGM_RSRC2:TGID_X_EN: 1
; COMPUTE_PGM_RSRC2:TGID_Y_EN: 0
; COMPUTE_PGM_RSRC2:TGID_Z_EN: 0
; COMPUTE_PGM_RSRC2:TIDIG_COMP_CNT: 0
; COMPUTE_PGM_RSRC3_GFX90A:ACCUM_OFFSET: 9
; COMPUTE_PGM_RSRC3_GFX90A:TG_SPLIT: 0
	.section	.text._ZN9rocsparseL28csrmmnn_general_block_reduceILj1024Eli21rocsparse_complex_numIdES2_EEvT0_PKT1_PKT3_PT2_l16rocsparse_order_,"axG",@progbits,_ZN9rocsparseL28csrmmnn_general_block_reduceILj1024Eli21rocsparse_complex_numIdES2_EEvT0_PKT1_PKT3_PT2_l16rocsparse_order_,comdat
	.globl	_ZN9rocsparseL28csrmmnn_general_block_reduceILj1024Eli21rocsparse_complex_numIdES2_EEvT0_PKT1_PKT3_PT2_l16rocsparse_order_ ; -- Begin function _ZN9rocsparseL28csrmmnn_general_block_reduceILj1024Eli21rocsparse_complex_numIdES2_EEvT0_PKT1_PKT3_PT2_l16rocsparse_order_
	.p2align	8
	.type	_ZN9rocsparseL28csrmmnn_general_block_reduceILj1024Eli21rocsparse_complex_numIdES2_EEvT0_PKT1_PKT3_PT2_l16rocsparse_order_,@function
_ZN9rocsparseL28csrmmnn_general_block_reduceILj1024Eli21rocsparse_complex_numIdES2_EEvT0_PKT1_PKT3_PT2_l16rocsparse_order_: ; @_ZN9rocsparseL28csrmmnn_general_block_reduceILj1024Eli21rocsparse_complex_numIdES2_EEvT0_PKT1_PKT3_PT2_l16rocsparse_order_
; %bb.0:
	s_load_dwordx2 s[34:35], s[4:5], 0x0
	v_mov_b32_e32 v4, -1
	v_mov_b32_e32 v1, 0
	v_lshlrev_b32_e32 v2, 3, v0
	v_mov_b32_e32 v5, v4
	ds_write_b64 v2, v[4:5] offset:16384
	v_lshlrev_b32_e32 v14, 4, v0
	s_mov_b32 s7, 0
	v_mov_b32_e32 v4, v1
	v_mov_b32_e32 v5, v1
	;; [unrolled: 1-line block ×4, first 2 shown]
	s_waitcnt lgkmcnt(0)
	v_cmp_gt_i64_e32 vcc, s[34:35], v[0:1]
	ds_write_b128 v14, v[4:7]
	s_waitcnt lgkmcnt(0)
	s_barrier
	s_and_saveexec_b64 s[0:1], vcc
	s_cbranch_execz .LBB13_51
; %bb.1:
	s_load_dwordx8 s[24:31], s[4:5], 0x8
	s_load_dword s36, s[4:5], 0x28
	s_lshl_b64 s[2:3], s[6:7], 4
	s_movk_i32 s7, 0x7f
	v_cmp_lt_u32_e64 s[14:15], s7, v0
	s_movk_i32 s7, 0xff
	s_waitcnt lgkmcnt(0)
	s_add_u32 s33, s28, s2
	v_cmp_lt_u32_e64 s[16:17], s7, v0
	s_movk_i32 s7, 0x1ff
	s_addc_u32 s38, s29, s3
	v_cmp_lt_u32_e64 s[18:19], s7, v0
	s_movk_i32 s7, 0x3ff
	v_cmp_ne_u32_e64 s[20:21], s7, v0
	s_cmp_lg_u32 s36, 1
	s_mul_i32 s7, s6, s31
	s_mul_hi_u32 s39, s6, s30
	s_cselect_b64 s[36:37], -1, 0
	s_add_i32 s41, s39, s7
	s_mul_i32 s40, s6, s30
	s_lshl_b64 s[40:41], s[40:41], 4
	s_add_u32 s28, s28, s40
	s_mul_i32 s7, s35, s6
	s_mul_hi_u32 s39, s34, s6
	s_addc_u32 s29, s29, s41
	s_add_i32 s7, s39, s7
	s_mul_i32 s6, s34, s6
	s_lshl_b64 s[6:7], s[6:7], 4
	s_add_u32 s6, s26, s6
	v_or_b32_e32 v15, 0x4000, v2
	v_lshlrev_b32_e32 v2, 4, v0
	s_addc_u32 s7, s27, s7
	v_mov_b32_e32 v3, s7
	v_add_co_u32_e32 v10, vcc, s6, v2
	v_addc_co_u32_e32 v11, vcc, 0, v3, vcc
	v_lshlrev_b32_e32 v2, 2, v0
	v_mov_b32_e32 v3, s25
	v_add_co_u32_e32 v12, vcc, s24, v2
	v_cmp_ne_u32_e64 s[0:1], 0, v0
	v_add_u32_e32 v16, -8, v15
	v_add_u32_e32 v17, -16, v14
	v_cmp_lt_u32_e64 s[2:3], 1, v0
	v_add_u32_e32 v18, -16, v15
	v_subrev_u32_e32 v19, 32, v14
	v_cmp_lt_u32_e64 s[4:5], 3, v0
	v_subrev_u32_e32 v20, 32, v15
	v_subrev_u32_e32 v21, 64, v14
	v_cmp_lt_u32_e64 s[22:23], 7, v0
	v_subrev_u32_e32 v22, 64, v15
	v_add_u32_e32 v23, 0xffffff80, v14
	v_cmp_lt_u32_e64 s[8:9], 15, v0
	v_add_u32_e32 v24, 0xffffff80, v15
	v_add_u32_e32 v25, 0xffffff00, v14
	v_cmp_lt_u32_e64 s[10:11], 31, v0
	v_add_u32_e32 v26, 0xffffff00, v15
	;; [unrolled: 3-line block ×3, first 2 shown]
	v_add_u32_e32 v29, 0xfffffc00, v14
	v_add_u32_e32 v30, 0xfffffc00, v15
	;; [unrolled: 1-line block ×7, first 2 shown]
	v_addc_co_u32_e32 v13, vcc, 0, v3, vcc
	s_mov_b64 s[24:25], 0
	s_branch .LBB13_4
.LBB13_2:                               ;   in Loop: Header=BB13_4 Depth=1
	global_load_dwordx4 v[6:9], v[4:5], off
	ds_read_b128 v[36:39], v14
	s_waitcnt vmcnt(0) lgkmcnt(0)
	v_add_f64 v[6:7], v[36:37], v[6:7]
	v_add_f64 v[8:9], v[38:39], v[8:9]
	global_store_dwordx4 v[4:5], v[6:9], off
.LBB13_3:                               ;   in Loop: Header=BB13_4 Depth=1
	s_or_b64 exec, exec, s[6:7]
	v_add_co_u32_e32 v0, vcc, 0x400, v0
	v_addc_co_u32_e32 v1, vcc, 0, v1, vcc
	v_add_co_u32_e32 v10, vcc, 0x4000, v10
	v_addc_co_u32_e32 v11, vcc, 0, v11, vcc
	v_add_co_u32_e32 v12, vcc, 0x1000, v12
	v_cmp_le_i64_e64 s[6:7], s[34:35], v[0:1]
	s_or_b64 s[24:25], s[6:7], s[24:25]
	v_addc_co_u32_e32 v13, vcc, 0, v13, vcc
	s_barrier
	s_andn2_b64 exec, exec, s[24:25]
	s_cbranch_execz .LBB13_51
.LBB13_4:                               ; =>This Inner Loop Header: Depth=1
	global_load_dword v2, v[12:13], off
	global_load_dwordx4 v[36:39], v[10:11], off
	v_pk_mov_b32 v[4:5], 0, 0
	v_pk_mov_b32 v[8:9], v[4:5], v[4:5] op_sel:[0,1]
	v_pk_mov_b32 v[6:7], v[4:5], v[4:5] op_sel:[0,1]
	s_waitcnt vmcnt(1)
	v_ashrrev_i32_e32 v3, 31, v2
	s_waitcnt vmcnt(0)
	ds_write2_b64 v14, v[36:37], v[38:39] offset1:1
	ds_write_b64 v15, v[2:3]
	s_waitcnt lgkmcnt(0)
	s_barrier
	s_and_saveexec_b64 s[6:7], s[0:1]
	s_cbranch_execz .LBB13_8
; %bb.5:                                ;   in Loop: Header=BB13_4 Depth=1
	ds_read2_b64 v[36:39], v16 offset1:1
	v_pk_mov_b32 v[6:7], 0, 0
	v_pk_mov_b32 v[8:9], v[6:7], v[6:7] op_sel:[0,1]
	s_waitcnt lgkmcnt(0)
	v_cmp_eq_u64_e32 vcc, v[38:39], v[36:37]
	s_and_saveexec_b64 s[26:27], vcc
	s_cbranch_execz .LBB13_7
; %bb.6:                                ;   in Loop: Header=BB13_4 Depth=1
	ds_read_b128 v[6:9], v17
.LBB13_7:                               ;   in Loop: Header=BB13_4 Depth=1
	s_or_b64 exec, exec, s[26:27]
.LBB13_8:                               ;   in Loop: Header=BB13_4 Depth=1
	s_or_b64 exec, exec, s[6:7]
	s_waitcnt lgkmcnt(0)
	s_barrier
	ds_read_b128 v[36:39], v14
	v_pk_mov_b32 v[2:3], v[4:5], v[4:5] op_sel:[0,1]
	s_waitcnt lgkmcnt(0)
	v_add_f64 v[6:7], v[6:7], v[36:37]
	v_add_f64 v[8:9], v[8:9], v[38:39]
	ds_write_b128 v14, v[6:9]
	s_waitcnt lgkmcnt(0)
	s_barrier
	s_and_saveexec_b64 s[6:7], s[2:3]
	s_cbranch_execz .LBB13_12
; %bb.9:                                ;   in Loop: Header=BB13_4 Depth=1
	ds_read_b64 v[4:5], v15
	ds_read_b64 v[6:7], v18
	v_pk_mov_b32 v[2:3], 0, 0
	s_waitcnt lgkmcnt(0)
	v_cmp_eq_u64_e32 vcc, v[4:5], v[6:7]
	v_pk_mov_b32 v[4:5], v[2:3], v[2:3] op_sel:[0,1]
	s_and_saveexec_b64 s[26:27], vcc
	s_cbranch_execz .LBB13_11
; %bb.10:                               ;   in Loop: Header=BB13_4 Depth=1
	ds_read_b128 v[2:5], v19
.LBB13_11:                              ;   in Loop: Header=BB13_4 Depth=1
	s_or_b64 exec, exec, s[26:27]
.LBB13_12:                              ;   in Loop: Header=BB13_4 Depth=1
	s_or_b64 exec, exec, s[6:7]
	s_waitcnt lgkmcnt(0)
	s_barrier
	ds_read_b128 v[6:9], v14
	s_waitcnt lgkmcnt(0)
	v_add_f64 v[2:3], v[2:3], v[6:7]
	v_add_f64 v[4:5], v[4:5], v[8:9]
	ds_write_b128 v14, v[2:5]
	v_pk_mov_b32 v[4:5], 0, 0
	v_pk_mov_b32 v[8:9], v[4:5], v[4:5] op_sel:[0,1]
	v_pk_mov_b32 v[6:7], v[4:5], v[4:5] op_sel:[0,1]
	s_waitcnt lgkmcnt(0)
	s_barrier
	s_and_saveexec_b64 s[6:7], s[4:5]
	s_cbranch_execz .LBB13_16
; %bb.13:                               ;   in Loop: Header=BB13_4 Depth=1
	ds_read_b64 v[2:3], v15
	ds_read_b64 v[8:9], v20
	v_pk_mov_b32 v[6:7], 0, 0
	s_waitcnt lgkmcnt(0)
	v_cmp_eq_u64_e32 vcc, v[2:3], v[8:9]
	v_pk_mov_b32 v[8:9], v[6:7], v[6:7] op_sel:[0,1]
	s_and_saveexec_b64 s[26:27], vcc
	s_cbranch_execz .LBB13_15
; %bb.14:                               ;   in Loop: Header=BB13_4 Depth=1
	ds_read_b128 v[6:9], v21
.LBB13_15:                              ;   in Loop: Header=BB13_4 Depth=1
	s_or_b64 exec, exec, s[26:27]
.LBB13_16:                              ;   in Loop: Header=BB13_4 Depth=1
	s_or_b64 exec, exec, s[6:7]
	s_waitcnt lgkmcnt(0)
	s_barrier
	ds_read_b128 v[36:39], v14
	v_pk_mov_b32 v[2:3], v[4:5], v[4:5] op_sel:[0,1]
	s_waitcnt lgkmcnt(0)
	v_add_f64 v[6:7], v[6:7], v[36:37]
	v_add_f64 v[8:9], v[8:9], v[38:39]
	ds_write_b128 v14, v[6:9]
	s_waitcnt lgkmcnt(0)
	s_barrier
	s_and_saveexec_b64 s[6:7], s[22:23]
	s_cbranch_execz .LBB13_20
; %bb.17:                               ;   in Loop: Header=BB13_4 Depth=1
	ds_read_b64 v[4:5], v15
	ds_read_b64 v[6:7], v22
	v_pk_mov_b32 v[2:3], 0, 0
	s_waitcnt lgkmcnt(0)
	v_cmp_eq_u64_e32 vcc, v[4:5], v[6:7]
	v_pk_mov_b32 v[4:5], v[2:3], v[2:3] op_sel:[0,1]
	s_and_saveexec_b64 s[26:27], vcc
	s_cbranch_execz .LBB13_19
; %bb.18:                               ;   in Loop: Header=BB13_4 Depth=1
	ds_read_b128 v[2:5], v23
.LBB13_19:                              ;   in Loop: Header=BB13_4 Depth=1
	s_or_b64 exec, exec, s[26:27]
.LBB13_20:                              ;   in Loop: Header=BB13_4 Depth=1
	s_or_b64 exec, exec, s[6:7]
	s_waitcnt lgkmcnt(0)
	s_barrier
	ds_read_b128 v[6:9], v14
	s_waitcnt lgkmcnt(0)
	v_add_f64 v[2:3], v[2:3], v[6:7]
	v_add_f64 v[4:5], v[4:5], v[8:9]
	ds_write_b128 v14, v[2:5]
	v_pk_mov_b32 v[4:5], 0, 0
	v_pk_mov_b32 v[8:9], v[4:5], v[4:5] op_sel:[0,1]
	v_pk_mov_b32 v[6:7], v[4:5], v[4:5] op_sel:[0,1]
	s_waitcnt lgkmcnt(0)
	s_barrier
	s_and_saveexec_b64 s[6:7], s[8:9]
	s_cbranch_execz .LBB13_24
; %bb.21:                               ;   in Loop: Header=BB13_4 Depth=1
	ds_read_b64 v[2:3], v15
	ds_read_b64 v[8:9], v24
	v_pk_mov_b32 v[6:7], 0, 0
	s_waitcnt lgkmcnt(0)
	v_cmp_eq_u64_e32 vcc, v[2:3], v[8:9]
	v_pk_mov_b32 v[8:9], v[6:7], v[6:7] op_sel:[0,1]
	s_and_saveexec_b64 s[26:27], vcc
	s_cbranch_execz .LBB13_23
; %bb.22:                               ;   in Loop: Header=BB13_4 Depth=1
	ds_read_b128 v[6:9], v25
.LBB13_23:                              ;   in Loop: Header=BB13_4 Depth=1
	s_or_b64 exec, exec, s[26:27]
.LBB13_24:                              ;   in Loop: Header=BB13_4 Depth=1
	s_or_b64 exec, exec, s[6:7]
	s_waitcnt lgkmcnt(0)
	s_barrier
	ds_read_b128 v[36:39], v14
	v_pk_mov_b32 v[2:3], v[4:5], v[4:5] op_sel:[0,1]
	s_waitcnt lgkmcnt(0)
	v_add_f64 v[6:7], v[6:7], v[36:37]
	v_add_f64 v[8:9], v[8:9], v[38:39]
	ds_write_b128 v14, v[6:9]
	s_waitcnt lgkmcnt(0)
	s_barrier
	s_and_saveexec_b64 s[6:7], s[10:11]
	s_cbranch_execz .LBB13_28
; %bb.25:                               ;   in Loop: Header=BB13_4 Depth=1
	ds_read_b64 v[4:5], v15
	ds_read_b64 v[6:7], v26
	v_pk_mov_b32 v[2:3], 0, 0
	s_waitcnt lgkmcnt(0)
	v_cmp_eq_u64_e32 vcc, v[4:5], v[6:7]
	v_pk_mov_b32 v[4:5], v[2:3], v[2:3] op_sel:[0,1]
	s_and_saveexec_b64 s[26:27], vcc
	s_cbranch_execz .LBB13_27
; %bb.26:                               ;   in Loop: Header=BB13_4 Depth=1
	ds_read_b128 v[2:5], v27
.LBB13_27:                              ;   in Loop: Header=BB13_4 Depth=1
	s_or_b64 exec, exec, s[26:27]
.LBB13_28:                              ;   in Loop: Header=BB13_4 Depth=1
	;; [unrolled: 56-line block ×4, first 2 shown]
	s_or_b64 exec, exec, s[6:7]
	s_waitcnt lgkmcnt(0)
	s_barrier
	ds_read_b128 v[6:9], v14
	s_waitcnt lgkmcnt(0)
	v_add_f64 v[2:3], v[2:3], v[6:7]
	v_add_f64 v[4:5], v[4:5], v[8:9]
	ds_write_b128 v14, v[2:5]
	s_waitcnt lgkmcnt(0)
	s_barrier
	ds_read_b64 v[2:3], v15
	v_pk_mov_b32 v[4:5], -1, -1
	s_and_saveexec_b64 s[6:7], s[20:21]
	s_cbranch_execz .LBB13_46
; %bb.45:                               ;   in Loop: Header=BB13_4 Depth=1
	ds_read_b64 v[4:5], v15 offset:8
.LBB13_46:                              ;   in Loop: Header=BB13_4 Depth=1
	s_or_b64 exec, exec, s[6:7]
	s_waitcnt lgkmcnt(0)
	v_cmp_ne_u64_e32 vcc, v[2:3], v[4:5]
	v_cmp_lt_i64_e64 s[6:7], -1, v[2:3]
	s_and_b64 s[26:27], s[6:7], vcc
	s_and_saveexec_b64 s[6:7], s[26:27]
	s_cbranch_execz .LBB13_3
; %bb.47:                               ;   in Loop: Header=BB13_4 Depth=1
	s_and_b64 vcc, exec, s[36:37]
	s_cbranch_vccz .LBB13_49
; %bb.48:                               ;   in Loop: Header=BB13_4 Depth=1
	v_mul_lo_u32 v6, v3, s30
	v_mul_lo_u32 v7, v2, s31
	v_mad_u64_u32 v[4:5], s[26:27], v2, s30, 0
	v_add3_u32 v5, v5, v7, v6
	v_lshlrev_b64 v[4:5], 4, v[4:5]
	v_mov_b32_e32 v6, s38
	v_add_co_u32_e32 v4, vcc, s33, v4
	v_addc_co_u32_e32 v5, vcc, v6, v5, vcc
	s_cbranch_execnz .LBB13_2
	s_branch .LBB13_50
.LBB13_49:                              ;   in Loop: Header=BB13_4 Depth=1
                                        ; implicit-def: $vgpr4_vgpr5
.LBB13_50:                              ;   in Loop: Header=BB13_4 Depth=1
	v_lshlrev_b64 v[2:3], 4, v[2:3]
	v_mov_b32_e32 v5, s29
	v_add_co_u32_e32 v4, vcc, s28, v2
	v_addc_co_u32_e32 v5, vcc, v5, v3, vcc
	s_branch .LBB13_2
.LBB13_51:
	s_endpgm
	.section	.rodata,"a",@progbits
	.p2align	6, 0x0
	.amdhsa_kernel _ZN9rocsparseL28csrmmnn_general_block_reduceILj1024Eli21rocsparse_complex_numIdES2_EEvT0_PKT1_PKT3_PT2_l16rocsparse_order_
		.amdhsa_group_segment_fixed_size 24576
		.amdhsa_private_segment_fixed_size 0
		.amdhsa_kernarg_size 44
		.amdhsa_user_sgpr_count 6
		.amdhsa_user_sgpr_private_segment_buffer 1
		.amdhsa_user_sgpr_dispatch_ptr 0
		.amdhsa_user_sgpr_queue_ptr 0
		.amdhsa_user_sgpr_kernarg_segment_ptr 1
		.amdhsa_user_sgpr_dispatch_id 0
		.amdhsa_user_sgpr_flat_scratch_init 0
		.amdhsa_user_sgpr_kernarg_preload_length 0
		.amdhsa_user_sgpr_kernarg_preload_offset 0
		.amdhsa_user_sgpr_private_segment_size 0
		.amdhsa_uses_dynamic_stack 0
		.amdhsa_system_sgpr_private_segment_wavefront_offset 0
		.amdhsa_system_sgpr_workgroup_id_x 1
		.amdhsa_system_sgpr_workgroup_id_y 0
		.amdhsa_system_sgpr_workgroup_id_z 0
		.amdhsa_system_sgpr_workgroup_info 0
		.amdhsa_system_vgpr_workitem_id 0
		.amdhsa_next_free_vgpr 40
		.amdhsa_next_free_sgpr 42
		.amdhsa_accum_offset 40
		.amdhsa_reserve_vcc 1
		.amdhsa_reserve_flat_scratch 0
		.amdhsa_float_round_mode_32 0
		.amdhsa_float_round_mode_16_64 0
		.amdhsa_float_denorm_mode_32 3
		.amdhsa_float_denorm_mode_16_64 3
		.amdhsa_dx10_clamp 1
		.amdhsa_ieee_mode 1
		.amdhsa_fp16_overflow 0
		.amdhsa_tg_split 0
		.amdhsa_exception_fp_ieee_invalid_op 0
		.amdhsa_exception_fp_denorm_src 0
		.amdhsa_exception_fp_ieee_div_zero 0
		.amdhsa_exception_fp_ieee_overflow 0
		.amdhsa_exception_fp_ieee_underflow 0
		.amdhsa_exception_fp_ieee_inexact 0
		.amdhsa_exception_int_div_zero 0
	.end_amdhsa_kernel
	.section	.text._ZN9rocsparseL28csrmmnn_general_block_reduceILj1024Eli21rocsparse_complex_numIdES2_EEvT0_PKT1_PKT3_PT2_l16rocsparse_order_,"axG",@progbits,_ZN9rocsparseL28csrmmnn_general_block_reduceILj1024Eli21rocsparse_complex_numIdES2_EEvT0_PKT1_PKT3_PT2_l16rocsparse_order_,comdat
.Lfunc_end13:
	.size	_ZN9rocsparseL28csrmmnn_general_block_reduceILj1024Eli21rocsparse_complex_numIdES2_EEvT0_PKT1_PKT3_PT2_l16rocsparse_order_, .Lfunc_end13-_ZN9rocsparseL28csrmmnn_general_block_reduceILj1024Eli21rocsparse_complex_numIdES2_EEvT0_PKT1_PKT3_PT2_l16rocsparse_order_
                                        ; -- End function
	.section	.AMDGPU.csdata,"",@progbits
; Kernel info:
; codeLenInByte = 2180
; NumSgprs: 46
; NumVgprs: 40
; NumAgprs: 0
; TotalNumVgprs: 40
; ScratchSize: 0
; MemoryBound: 0
; FloatMode: 240
; IeeeMode: 1
; LDSByteSize: 24576 bytes/workgroup (compile time only)
; SGPRBlocks: 5
; VGPRBlocks: 4
; NumSGPRsForWavesPerEU: 46
; NumVGPRsForWavesPerEU: 40
; AccumOffset: 40
; Occupancy: 8
; WaveLimiterHint : 0
; COMPUTE_PGM_RSRC2:SCRATCH_EN: 0
; COMPUTE_PGM_RSRC2:USER_SGPR: 6
; COMPUTE_PGM_RSRC2:TRAP_HANDLER: 0
; COMPUTE_PGM_RSRC2:TGID_X_EN: 1
; COMPUTE_PGM_RSRC2:TGID_Y_EN: 0
; COMPUTE_PGM_RSRC2:TGID_Z_EN: 0
; COMPUTE_PGM_RSRC2:TIDIG_COMP_CNT: 0
; COMPUTE_PGM_RSRC3_GFX90A:ACCUM_OFFSET: 9
; COMPUTE_PGM_RSRC3_GFX90A:TG_SPLIT: 0
	.section	.text._ZN9rocsparseL28csrmmnn_general_block_reduceILj1024Ell21rocsparse_complex_numIdES2_EEvT0_PKT1_PKT3_PT2_l16rocsparse_order_,"axG",@progbits,_ZN9rocsparseL28csrmmnn_general_block_reduceILj1024Ell21rocsparse_complex_numIdES2_EEvT0_PKT1_PKT3_PT2_l16rocsparse_order_,comdat
	.globl	_ZN9rocsparseL28csrmmnn_general_block_reduceILj1024Ell21rocsparse_complex_numIdES2_EEvT0_PKT1_PKT3_PT2_l16rocsparse_order_ ; -- Begin function _ZN9rocsparseL28csrmmnn_general_block_reduceILj1024Ell21rocsparse_complex_numIdES2_EEvT0_PKT1_PKT3_PT2_l16rocsparse_order_
	.p2align	8
	.type	_ZN9rocsparseL28csrmmnn_general_block_reduceILj1024Ell21rocsparse_complex_numIdES2_EEvT0_PKT1_PKT3_PT2_l16rocsparse_order_,@function
_ZN9rocsparseL28csrmmnn_general_block_reduceILj1024Ell21rocsparse_complex_numIdES2_EEvT0_PKT1_PKT3_PT2_l16rocsparse_order_: ; @_ZN9rocsparseL28csrmmnn_general_block_reduceILj1024Ell21rocsparse_complex_numIdES2_EEvT0_PKT1_PKT3_PT2_l16rocsparse_order_
; %bb.0:
	s_load_dwordx2 s[34:35], s[4:5], 0x0
	v_mov_b32_e32 v4, -1
	v_mov_b32_e32 v1, 0
	v_lshlrev_b32_e32 v2, 3, v0
	v_mov_b32_e32 v5, v4
	ds_write_b64 v2, v[4:5] offset:16384
	v_lshlrev_b32_e32 v14, 4, v0
	s_mov_b32 s7, 0
	v_mov_b32_e32 v4, v1
	v_mov_b32_e32 v5, v1
	;; [unrolled: 1-line block ×4, first 2 shown]
	s_waitcnt lgkmcnt(0)
	v_cmp_gt_i64_e32 vcc, s[34:35], v[0:1]
	ds_write_b128 v14, v[4:7]
	s_waitcnt lgkmcnt(0)
	s_barrier
	s_and_saveexec_b64 s[0:1], vcc
	s_cbranch_execz .LBB14_51
; %bb.1:
	s_load_dwordx8 s[24:31], s[4:5], 0x8
	s_load_dword s36, s[4:5], 0x28
	s_lshl_b64 s[2:3], s[6:7], 4
	s_movk_i32 s7, 0x7f
	v_cmp_lt_u32_e64 s[14:15], s7, v0
	s_movk_i32 s7, 0xff
	s_waitcnt lgkmcnt(0)
	s_add_u32 s33, s28, s2
	v_cmp_lt_u32_e64 s[16:17], s7, v0
	s_movk_i32 s7, 0x1ff
	s_addc_u32 s38, s29, s3
	v_cmp_lt_u32_e64 s[18:19], s7, v0
	s_movk_i32 s7, 0x3ff
	v_cmp_ne_u32_e64 s[20:21], s7, v0
	s_cmp_lg_u32 s36, 1
	s_mul_i32 s7, s6, s31
	s_mul_hi_u32 s39, s6, s30
	s_cselect_b64 s[36:37], -1, 0
	s_add_i32 s41, s39, s7
	s_mul_i32 s40, s6, s30
	s_lshl_b64 s[40:41], s[40:41], 4
	s_add_u32 s28, s28, s40
	s_mul_i32 s7, s35, s6
	s_mul_hi_u32 s39, s34, s6
	s_addc_u32 s29, s29, s41
	s_add_i32 s7, s39, s7
	s_mul_i32 s6, s34, s6
	s_lshl_b64 s[6:7], s[6:7], 4
	s_add_u32 s6, s26, s6
	v_or_b32_e32 v15, 0x4000, v2
	v_lshlrev_b32_e32 v2, 4, v0
	s_addc_u32 s7, s27, s7
	v_mov_b32_e32 v3, s7
	v_add_co_u32_e32 v10, vcc, s6, v2
	v_addc_co_u32_e32 v11, vcc, 0, v3, vcc
	v_lshlrev_b32_e32 v2, 3, v0
	v_mov_b32_e32 v3, s25
	v_add_co_u32_e32 v12, vcc, s24, v2
	v_cmp_ne_u32_e64 s[0:1], 0, v0
	v_add_u32_e32 v16, -8, v15
	v_add_u32_e32 v17, -16, v14
	v_cmp_lt_u32_e64 s[2:3], 1, v0
	v_add_u32_e32 v18, -16, v15
	v_subrev_u32_e32 v19, 32, v14
	v_cmp_lt_u32_e64 s[4:5], 3, v0
	v_subrev_u32_e32 v20, 32, v15
	v_subrev_u32_e32 v21, 64, v14
	v_cmp_lt_u32_e64 s[22:23], 7, v0
	v_subrev_u32_e32 v22, 64, v15
	v_add_u32_e32 v23, 0xffffff80, v14
	v_cmp_lt_u32_e64 s[8:9], 15, v0
	v_add_u32_e32 v24, 0xffffff80, v15
	v_add_u32_e32 v25, 0xffffff00, v14
	v_cmp_lt_u32_e64 s[10:11], 31, v0
	v_add_u32_e32 v26, 0xffffff00, v15
	;; [unrolled: 3-line block ×3, first 2 shown]
	v_add_u32_e32 v29, 0xfffffc00, v14
	v_add_u32_e32 v30, 0xfffffc00, v15
	;; [unrolled: 1-line block ×7, first 2 shown]
	v_addc_co_u32_e32 v13, vcc, 0, v3, vcc
	s_mov_b64 s[24:25], 0
	s_branch .LBB14_4
.LBB14_2:                               ;   in Loop: Header=BB14_4 Depth=1
	global_load_dwordx4 v[6:9], v[4:5], off
	ds_read_b128 v[36:39], v14
	s_waitcnt vmcnt(0) lgkmcnt(0)
	v_add_f64 v[6:7], v[36:37], v[6:7]
	v_add_f64 v[8:9], v[38:39], v[8:9]
	global_store_dwordx4 v[4:5], v[6:9], off
.LBB14_3:                               ;   in Loop: Header=BB14_4 Depth=1
	s_or_b64 exec, exec, s[6:7]
	v_add_co_u32_e32 v0, vcc, 0x400, v0
	v_addc_co_u32_e32 v1, vcc, 0, v1, vcc
	v_add_co_u32_e32 v10, vcc, 0x4000, v10
	v_addc_co_u32_e32 v11, vcc, 0, v11, vcc
	v_add_co_u32_e32 v12, vcc, 0x2000, v12
	v_cmp_le_i64_e64 s[6:7], s[34:35], v[0:1]
	s_or_b64 s[24:25], s[6:7], s[24:25]
	v_addc_co_u32_e32 v13, vcc, 0, v13, vcc
	s_barrier
	s_andn2_b64 exec, exec, s[24:25]
	s_cbranch_execz .LBB14_51
.LBB14_4:                               ; =>This Inner Loop Header: Depth=1
	global_load_dwordx2 v[2:3], v[12:13], off
	global_load_dwordx4 v[36:39], v[10:11], off
	v_pk_mov_b32 v[4:5], 0, 0
	v_pk_mov_b32 v[8:9], v[4:5], v[4:5] op_sel:[0,1]
	v_pk_mov_b32 v[6:7], v[4:5], v[4:5] op_sel:[0,1]
	s_waitcnt vmcnt(1)
	ds_write_b64 v15, v[2:3]
	s_waitcnt vmcnt(0)
	ds_write2_b64 v14, v[36:37], v[38:39] offset1:1
	s_waitcnt lgkmcnt(0)
	s_barrier
	s_and_saveexec_b64 s[6:7], s[0:1]
	s_cbranch_execz .LBB14_8
; %bb.5:                                ;   in Loop: Header=BB14_4 Depth=1
	ds_read2_b64 v[36:39], v16 offset1:1
	v_pk_mov_b32 v[6:7], 0, 0
	v_pk_mov_b32 v[8:9], v[6:7], v[6:7] op_sel:[0,1]
	s_waitcnt lgkmcnt(0)
	v_cmp_eq_u64_e32 vcc, v[38:39], v[36:37]
	s_and_saveexec_b64 s[26:27], vcc
	s_cbranch_execz .LBB14_7
; %bb.6:                                ;   in Loop: Header=BB14_4 Depth=1
	ds_read_b128 v[6:9], v17
.LBB14_7:                               ;   in Loop: Header=BB14_4 Depth=1
	s_or_b64 exec, exec, s[26:27]
.LBB14_8:                               ;   in Loop: Header=BB14_4 Depth=1
	s_or_b64 exec, exec, s[6:7]
	s_waitcnt lgkmcnt(0)
	s_barrier
	ds_read_b128 v[36:39], v14
	v_pk_mov_b32 v[2:3], v[4:5], v[4:5] op_sel:[0,1]
	s_waitcnt lgkmcnt(0)
	v_add_f64 v[6:7], v[6:7], v[36:37]
	v_add_f64 v[8:9], v[8:9], v[38:39]
	ds_write_b128 v14, v[6:9]
	s_waitcnt lgkmcnt(0)
	s_barrier
	s_and_saveexec_b64 s[6:7], s[2:3]
	s_cbranch_execz .LBB14_12
; %bb.9:                                ;   in Loop: Header=BB14_4 Depth=1
	ds_read_b64 v[4:5], v15
	ds_read_b64 v[6:7], v18
	v_pk_mov_b32 v[2:3], 0, 0
	s_waitcnt lgkmcnt(0)
	v_cmp_eq_u64_e32 vcc, v[4:5], v[6:7]
	v_pk_mov_b32 v[4:5], v[2:3], v[2:3] op_sel:[0,1]
	s_and_saveexec_b64 s[26:27], vcc
	s_cbranch_execz .LBB14_11
; %bb.10:                               ;   in Loop: Header=BB14_4 Depth=1
	ds_read_b128 v[2:5], v19
.LBB14_11:                              ;   in Loop: Header=BB14_4 Depth=1
	s_or_b64 exec, exec, s[26:27]
.LBB14_12:                              ;   in Loop: Header=BB14_4 Depth=1
	s_or_b64 exec, exec, s[6:7]
	s_waitcnt lgkmcnt(0)
	s_barrier
	ds_read_b128 v[6:9], v14
	s_waitcnt lgkmcnt(0)
	v_add_f64 v[2:3], v[2:3], v[6:7]
	v_add_f64 v[4:5], v[4:5], v[8:9]
	ds_write_b128 v14, v[2:5]
	v_pk_mov_b32 v[4:5], 0, 0
	v_pk_mov_b32 v[8:9], v[4:5], v[4:5] op_sel:[0,1]
	v_pk_mov_b32 v[6:7], v[4:5], v[4:5] op_sel:[0,1]
	s_waitcnt lgkmcnt(0)
	s_barrier
	s_and_saveexec_b64 s[6:7], s[4:5]
	s_cbranch_execz .LBB14_16
; %bb.13:                               ;   in Loop: Header=BB14_4 Depth=1
	ds_read_b64 v[2:3], v15
	ds_read_b64 v[8:9], v20
	v_pk_mov_b32 v[6:7], 0, 0
	s_waitcnt lgkmcnt(0)
	v_cmp_eq_u64_e32 vcc, v[2:3], v[8:9]
	v_pk_mov_b32 v[8:9], v[6:7], v[6:7] op_sel:[0,1]
	s_and_saveexec_b64 s[26:27], vcc
	s_cbranch_execz .LBB14_15
; %bb.14:                               ;   in Loop: Header=BB14_4 Depth=1
	ds_read_b128 v[6:9], v21
.LBB14_15:                              ;   in Loop: Header=BB14_4 Depth=1
	s_or_b64 exec, exec, s[26:27]
.LBB14_16:                              ;   in Loop: Header=BB14_4 Depth=1
	s_or_b64 exec, exec, s[6:7]
	s_waitcnt lgkmcnt(0)
	s_barrier
	ds_read_b128 v[36:39], v14
	v_pk_mov_b32 v[2:3], v[4:5], v[4:5] op_sel:[0,1]
	s_waitcnt lgkmcnt(0)
	v_add_f64 v[6:7], v[6:7], v[36:37]
	v_add_f64 v[8:9], v[8:9], v[38:39]
	ds_write_b128 v14, v[6:9]
	s_waitcnt lgkmcnt(0)
	s_barrier
	s_and_saveexec_b64 s[6:7], s[22:23]
	s_cbranch_execz .LBB14_20
; %bb.17:                               ;   in Loop: Header=BB14_4 Depth=1
	ds_read_b64 v[4:5], v15
	ds_read_b64 v[6:7], v22
	v_pk_mov_b32 v[2:3], 0, 0
	s_waitcnt lgkmcnt(0)
	v_cmp_eq_u64_e32 vcc, v[4:5], v[6:7]
	v_pk_mov_b32 v[4:5], v[2:3], v[2:3] op_sel:[0,1]
	s_and_saveexec_b64 s[26:27], vcc
	s_cbranch_execz .LBB14_19
; %bb.18:                               ;   in Loop: Header=BB14_4 Depth=1
	ds_read_b128 v[2:5], v23
.LBB14_19:                              ;   in Loop: Header=BB14_4 Depth=1
	s_or_b64 exec, exec, s[26:27]
.LBB14_20:                              ;   in Loop: Header=BB14_4 Depth=1
	s_or_b64 exec, exec, s[6:7]
	s_waitcnt lgkmcnt(0)
	s_barrier
	ds_read_b128 v[6:9], v14
	s_waitcnt lgkmcnt(0)
	v_add_f64 v[2:3], v[2:3], v[6:7]
	v_add_f64 v[4:5], v[4:5], v[8:9]
	ds_write_b128 v14, v[2:5]
	v_pk_mov_b32 v[4:5], 0, 0
	v_pk_mov_b32 v[8:9], v[4:5], v[4:5] op_sel:[0,1]
	v_pk_mov_b32 v[6:7], v[4:5], v[4:5] op_sel:[0,1]
	s_waitcnt lgkmcnt(0)
	s_barrier
	s_and_saveexec_b64 s[6:7], s[8:9]
	s_cbranch_execz .LBB14_24
; %bb.21:                               ;   in Loop: Header=BB14_4 Depth=1
	ds_read_b64 v[2:3], v15
	ds_read_b64 v[8:9], v24
	v_pk_mov_b32 v[6:7], 0, 0
	s_waitcnt lgkmcnt(0)
	v_cmp_eq_u64_e32 vcc, v[2:3], v[8:9]
	v_pk_mov_b32 v[8:9], v[6:7], v[6:7] op_sel:[0,1]
	s_and_saveexec_b64 s[26:27], vcc
	s_cbranch_execz .LBB14_23
; %bb.22:                               ;   in Loop: Header=BB14_4 Depth=1
	ds_read_b128 v[6:9], v25
.LBB14_23:                              ;   in Loop: Header=BB14_4 Depth=1
	s_or_b64 exec, exec, s[26:27]
.LBB14_24:                              ;   in Loop: Header=BB14_4 Depth=1
	s_or_b64 exec, exec, s[6:7]
	s_waitcnt lgkmcnt(0)
	s_barrier
	ds_read_b128 v[36:39], v14
	v_pk_mov_b32 v[2:3], v[4:5], v[4:5] op_sel:[0,1]
	s_waitcnt lgkmcnt(0)
	v_add_f64 v[6:7], v[6:7], v[36:37]
	v_add_f64 v[8:9], v[8:9], v[38:39]
	ds_write_b128 v14, v[6:9]
	s_waitcnt lgkmcnt(0)
	s_barrier
	s_and_saveexec_b64 s[6:7], s[10:11]
	s_cbranch_execz .LBB14_28
; %bb.25:                               ;   in Loop: Header=BB14_4 Depth=1
	ds_read_b64 v[4:5], v15
	ds_read_b64 v[6:7], v26
	v_pk_mov_b32 v[2:3], 0, 0
	s_waitcnt lgkmcnt(0)
	v_cmp_eq_u64_e32 vcc, v[4:5], v[6:7]
	v_pk_mov_b32 v[4:5], v[2:3], v[2:3] op_sel:[0,1]
	s_and_saveexec_b64 s[26:27], vcc
	s_cbranch_execz .LBB14_27
; %bb.26:                               ;   in Loop: Header=BB14_4 Depth=1
	ds_read_b128 v[2:5], v27
.LBB14_27:                              ;   in Loop: Header=BB14_4 Depth=1
	s_or_b64 exec, exec, s[26:27]
.LBB14_28:                              ;   in Loop: Header=BB14_4 Depth=1
	s_or_b64 exec, exec, s[6:7]
	s_waitcnt lgkmcnt(0)
	s_barrier
	ds_read_b128 v[6:9], v14
	s_waitcnt lgkmcnt(0)
	v_add_f64 v[2:3], v[2:3], v[6:7]
	v_add_f64 v[4:5], v[4:5], v[8:9]
	ds_write_b128 v14, v[2:5]
	v_pk_mov_b32 v[4:5], 0, 0
	v_pk_mov_b32 v[8:9], v[4:5], v[4:5] op_sel:[0,1]
	v_pk_mov_b32 v[6:7], v[4:5], v[4:5] op_sel:[0,1]
	s_waitcnt lgkmcnt(0)
	s_barrier
	s_and_saveexec_b64 s[6:7], s[12:13]
	s_cbranch_execz .LBB14_32
; %bb.29:                               ;   in Loop: Header=BB14_4 Depth=1
	ds_read_b64 v[2:3], v15
	ds_read_b64 v[8:9], v28
	v_pk_mov_b32 v[6:7], 0, 0
	s_waitcnt lgkmcnt(0)
	v_cmp_eq_u64_e32 vcc, v[2:3], v[8:9]
	v_pk_mov_b32 v[8:9], v[6:7], v[6:7] op_sel:[0,1]
	s_and_saveexec_b64 s[26:27], vcc
	s_cbranch_execz .LBB14_31
; %bb.30:                               ;   in Loop: Header=BB14_4 Depth=1
	ds_read_b128 v[6:9], v29
.LBB14_31:                              ;   in Loop: Header=BB14_4 Depth=1
	s_or_b64 exec, exec, s[26:27]
.LBB14_32:                              ;   in Loop: Header=BB14_4 Depth=1
	s_or_b64 exec, exec, s[6:7]
	s_waitcnt lgkmcnt(0)
	s_barrier
	ds_read_b128 v[36:39], v14
	v_pk_mov_b32 v[2:3], v[4:5], v[4:5] op_sel:[0,1]
	s_waitcnt lgkmcnt(0)
	v_add_f64 v[6:7], v[6:7], v[36:37]
	v_add_f64 v[8:9], v[8:9], v[38:39]
	ds_write_b128 v14, v[6:9]
	s_waitcnt lgkmcnt(0)
	s_barrier
	s_and_saveexec_b64 s[6:7], s[14:15]
	s_cbranch_execz .LBB14_36
; %bb.33:                               ;   in Loop: Header=BB14_4 Depth=1
	ds_read_b64 v[4:5], v15
	ds_read_b64 v[6:7], v30
	v_pk_mov_b32 v[2:3], 0, 0
	s_waitcnt lgkmcnt(0)
	v_cmp_eq_u64_e32 vcc, v[4:5], v[6:7]
	v_pk_mov_b32 v[4:5], v[2:3], v[2:3] op_sel:[0,1]
	s_and_saveexec_b64 s[26:27], vcc
	s_cbranch_execz .LBB14_35
; %bb.34:                               ;   in Loop: Header=BB14_4 Depth=1
	ds_read_b128 v[2:5], v31
.LBB14_35:                              ;   in Loop: Header=BB14_4 Depth=1
	s_or_b64 exec, exec, s[26:27]
.LBB14_36:                              ;   in Loop: Header=BB14_4 Depth=1
	s_or_b64 exec, exec, s[6:7]
	s_waitcnt lgkmcnt(0)
	s_barrier
	ds_read_b128 v[6:9], v14
	s_waitcnt lgkmcnt(0)
	v_add_f64 v[2:3], v[2:3], v[6:7]
	v_add_f64 v[4:5], v[4:5], v[8:9]
	ds_write_b128 v14, v[2:5]
	v_pk_mov_b32 v[4:5], 0, 0
	v_pk_mov_b32 v[8:9], v[4:5], v[4:5] op_sel:[0,1]
	v_pk_mov_b32 v[6:7], v[4:5], v[4:5] op_sel:[0,1]
	s_waitcnt lgkmcnt(0)
	s_barrier
	s_and_saveexec_b64 s[6:7], s[16:17]
	s_cbranch_execz .LBB14_40
; %bb.37:                               ;   in Loop: Header=BB14_4 Depth=1
	ds_read_b64 v[2:3], v15
	ds_read_b64 v[8:9], v32
	v_pk_mov_b32 v[6:7], 0, 0
	s_waitcnt lgkmcnt(0)
	v_cmp_eq_u64_e32 vcc, v[2:3], v[8:9]
	v_pk_mov_b32 v[8:9], v[6:7], v[6:7] op_sel:[0,1]
	s_and_saveexec_b64 s[26:27], vcc
	s_cbranch_execz .LBB14_39
; %bb.38:                               ;   in Loop: Header=BB14_4 Depth=1
	ds_read_b128 v[6:9], v33
.LBB14_39:                              ;   in Loop: Header=BB14_4 Depth=1
	s_or_b64 exec, exec, s[26:27]
.LBB14_40:                              ;   in Loop: Header=BB14_4 Depth=1
	s_or_b64 exec, exec, s[6:7]
	s_waitcnt lgkmcnt(0)
	s_barrier
	ds_read_b128 v[36:39], v14
	v_pk_mov_b32 v[2:3], v[4:5], v[4:5] op_sel:[0,1]
	s_waitcnt lgkmcnt(0)
	v_add_f64 v[6:7], v[6:7], v[36:37]
	v_add_f64 v[8:9], v[8:9], v[38:39]
	ds_write_b128 v14, v[6:9]
	s_waitcnt lgkmcnt(0)
	s_barrier
	s_and_saveexec_b64 s[6:7], s[18:19]
	s_cbranch_execz .LBB14_44
; %bb.41:                               ;   in Loop: Header=BB14_4 Depth=1
	ds_read_b64 v[4:5], v15
	ds_read_b64 v[6:7], v34
	v_pk_mov_b32 v[2:3], 0, 0
	s_waitcnt lgkmcnt(0)
	v_cmp_eq_u64_e32 vcc, v[4:5], v[6:7]
	v_pk_mov_b32 v[4:5], v[2:3], v[2:3] op_sel:[0,1]
	s_and_saveexec_b64 s[26:27], vcc
	s_cbranch_execz .LBB14_43
; %bb.42:                               ;   in Loop: Header=BB14_4 Depth=1
	ds_read_b128 v[2:5], v35
.LBB14_43:                              ;   in Loop: Header=BB14_4 Depth=1
	s_or_b64 exec, exec, s[26:27]
.LBB14_44:                              ;   in Loop: Header=BB14_4 Depth=1
	s_or_b64 exec, exec, s[6:7]
	s_waitcnt lgkmcnt(0)
	s_barrier
	ds_read_b128 v[6:9], v14
	s_waitcnt lgkmcnt(0)
	v_add_f64 v[2:3], v[2:3], v[6:7]
	v_add_f64 v[4:5], v[4:5], v[8:9]
	ds_write_b128 v14, v[2:5]
	s_waitcnt lgkmcnt(0)
	s_barrier
	ds_read_b64 v[2:3], v15
	v_pk_mov_b32 v[4:5], -1, -1
	s_and_saveexec_b64 s[6:7], s[20:21]
	s_cbranch_execz .LBB14_46
; %bb.45:                               ;   in Loop: Header=BB14_4 Depth=1
	ds_read_b64 v[4:5], v15 offset:8
.LBB14_46:                              ;   in Loop: Header=BB14_4 Depth=1
	s_or_b64 exec, exec, s[6:7]
	s_waitcnt lgkmcnt(0)
	v_cmp_ne_u64_e32 vcc, v[2:3], v[4:5]
	v_cmp_lt_i64_e64 s[6:7], -1, v[2:3]
	s_and_b64 s[26:27], s[6:7], vcc
	s_and_saveexec_b64 s[6:7], s[26:27]
	s_cbranch_execz .LBB14_3
; %bb.47:                               ;   in Loop: Header=BB14_4 Depth=1
	s_and_b64 vcc, exec, s[36:37]
	s_cbranch_vccz .LBB14_49
; %bb.48:                               ;   in Loop: Header=BB14_4 Depth=1
	v_mul_lo_u32 v6, v3, s30
	v_mul_lo_u32 v7, v2, s31
	v_mad_u64_u32 v[4:5], s[26:27], v2, s30, 0
	v_add3_u32 v5, v5, v7, v6
	v_lshlrev_b64 v[4:5], 4, v[4:5]
	v_mov_b32_e32 v6, s38
	v_add_co_u32_e32 v4, vcc, s33, v4
	v_addc_co_u32_e32 v5, vcc, v6, v5, vcc
	s_cbranch_execnz .LBB14_2
	s_branch .LBB14_50
.LBB14_49:                              ;   in Loop: Header=BB14_4 Depth=1
                                        ; implicit-def: $vgpr4_vgpr5
.LBB14_50:                              ;   in Loop: Header=BB14_4 Depth=1
	v_lshlrev_b64 v[2:3], 4, v[2:3]
	v_mov_b32_e32 v5, s29
	v_add_co_u32_e32 v4, vcc, s28, v2
	v_addc_co_u32_e32 v5, vcc, v5, v3, vcc
	s_branch .LBB14_2
.LBB14_51:
	s_endpgm
	.section	.rodata,"a",@progbits
	.p2align	6, 0x0
	.amdhsa_kernel _ZN9rocsparseL28csrmmnn_general_block_reduceILj1024Ell21rocsparse_complex_numIdES2_EEvT0_PKT1_PKT3_PT2_l16rocsparse_order_
		.amdhsa_group_segment_fixed_size 24576
		.amdhsa_private_segment_fixed_size 0
		.amdhsa_kernarg_size 44
		.amdhsa_user_sgpr_count 6
		.amdhsa_user_sgpr_private_segment_buffer 1
		.amdhsa_user_sgpr_dispatch_ptr 0
		.amdhsa_user_sgpr_queue_ptr 0
		.amdhsa_user_sgpr_kernarg_segment_ptr 1
		.amdhsa_user_sgpr_dispatch_id 0
		.amdhsa_user_sgpr_flat_scratch_init 0
		.amdhsa_user_sgpr_kernarg_preload_length 0
		.amdhsa_user_sgpr_kernarg_preload_offset 0
		.amdhsa_user_sgpr_private_segment_size 0
		.amdhsa_uses_dynamic_stack 0
		.amdhsa_system_sgpr_private_segment_wavefront_offset 0
		.amdhsa_system_sgpr_workgroup_id_x 1
		.amdhsa_system_sgpr_workgroup_id_y 0
		.amdhsa_system_sgpr_workgroup_id_z 0
		.amdhsa_system_sgpr_workgroup_info 0
		.amdhsa_system_vgpr_workitem_id 0
		.amdhsa_next_free_vgpr 40
		.amdhsa_next_free_sgpr 42
		.amdhsa_accum_offset 40
		.amdhsa_reserve_vcc 1
		.amdhsa_reserve_flat_scratch 0
		.amdhsa_float_round_mode_32 0
		.amdhsa_float_round_mode_16_64 0
		.amdhsa_float_denorm_mode_32 3
		.amdhsa_float_denorm_mode_16_64 3
		.amdhsa_dx10_clamp 1
		.amdhsa_ieee_mode 1
		.amdhsa_fp16_overflow 0
		.amdhsa_tg_split 0
		.amdhsa_exception_fp_ieee_invalid_op 0
		.amdhsa_exception_fp_denorm_src 0
		.amdhsa_exception_fp_ieee_div_zero 0
		.amdhsa_exception_fp_ieee_overflow 0
		.amdhsa_exception_fp_ieee_underflow 0
		.amdhsa_exception_fp_ieee_inexact 0
		.amdhsa_exception_int_div_zero 0
	.end_amdhsa_kernel
	.section	.text._ZN9rocsparseL28csrmmnn_general_block_reduceILj1024Ell21rocsparse_complex_numIdES2_EEvT0_PKT1_PKT3_PT2_l16rocsparse_order_,"axG",@progbits,_ZN9rocsparseL28csrmmnn_general_block_reduceILj1024Ell21rocsparse_complex_numIdES2_EEvT0_PKT1_PKT3_PT2_l16rocsparse_order_,comdat
.Lfunc_end14:
	.size	_ZN9rocsparseL28csrmmnn_general_block_reduceILj1024Ell21rocsparse_complex_numIdES2_EEvT0_PKT1_PKT3_PT2_l16rocsparse_order_, .Lfunc_end14-_ZN9rocsparseL28csrmmnn_general_block_reduceILj1024Ell21rocsparse_complex_numIdES2_EEvT0_PKT1_PKT3_PT2_l16rocsparse_order_
                                        ; -- End function
	.section	.AMDGPU.csdata,"",@progbits
; Kernel info:
; codeLenInByte = 2176
; NumSgprs: 46
; NumVgprs: 40
; NumAgprs: 0
; TotalNumVgprs: 40
; ScratchSize: 0
; MemoryBound: 0
; FloatMode: 240
; IeeeMode: 1
; LDSByteSize: 24576 bytes/workgroup (compile time only)
; SGPRBlocks: 5
; VGPRBlocks: 4
; NumSGPRsForWavesPerEU: 46
; NumVGPRsForWavesPerEU: 40
; AccumOffset: 40
; Occupancy: 8
; WaveLimiterHint : 0
; COMPUTE_PGM_RSRC2:SCRATCH_EN: 0
; COMPUTE_PGM_RSRC2:USER_SGPR: 6
; COMPUTE_PGM_RSRC2:TRAP_HANDLER: 0
; COMPUTE_PGM_RSRC2:TGID_X_EN: 1
; COMPUTE_PGM_RSRC2:TGID_Y_EN: 0
; COMPUTE_PGM_RSRC2:TGID_Z_EN: 0
; COMPUTE_PGM_RSRC2:TIDIG_COMP_CNT: 0
; COMPUTE_PGM_RSRC3_GFX90A:ACCUM_OFFSET: 9
; COMPUTE_PGM_RSRC3_GFX90A:TG_SPLIT: 0
	.section	.text._ZN9rocsparseL28csrmmnn_general_block_reduceILj1024EiiiiEEvT0_PKT1_PKT3_PT2_l16rocsparse_order_,"axG",@progbits,_ZN9rocsparseL28csrmmnn_general_block_reduceILj1024EiiiiEEvT0_PKT1_PKT3_PT2_l16rocsparse_order_,comdat
	.globl	_ZN9rocsparseL28csrmmnn_general_block_reduceILj1024EiiiiEEvT0_PKT1_PKT3_PT2_l16rocsparse_order_ ; -- Begin function _ZN9rocsparseL28csrmmnn_general_block_reduceILj1024EiiiiEEvT0_PKT1_PKT3_PT2_l16rocsparse_order_
	.p2align	8
	.type	_ZN9rocsparseL28csrmmnn_general_block_reduceILj1024EiiiiEEvT0_PKT1_PKT3_PT2_l16rocsparse_order_,@function
_ZN9rocsparseL28csrmmnn_general_block_reduceILj1024EiiiiEEvT0_PKT1_PKT3_PT2_l16rocsparse_order_: ; @_ZN9rocsparseL28csrmmnn_general_block_reduceILj1024EiiiiEEvT0_PKT1_PKT3_PT2_l16rocsparse_order_
; %bb.0:
	s_load_dword s33, s[4:5], 0x0
	v_lshlrev_b32_e32 v6, 2, v0
	v_mov_b32_e32 v1, -1
	v_mov_b32_e32 v3, 0
	ds_write2st64_b32 v6, v1, v3 offset1:16
	s_waitcnt lgkmcnt(0)
	v_cmp_gt_i32_e32 vcc, s33, v0
	s_barrier
	s_and_saveexec_b64 s[0:1], vcc
	s_cbranch_execz .LBB15_51
; %bb.1:
	s_load_dword s7, s[4:5], 0x28
	s_load_dwordx8 s[24:31], s[4:5], 0x8
	s_mul_i32 s38, s6, s33
	v_or_b32_e32 v7, 0x1000, v6
	s_movk_i32 s14, 0x7f
	s_waitcnt lgkmcnt(0)
	s_cmp_lg_u32 s7, 1
	s_cselect_b64 s[34:35], -1, 0
	s_ashr_i32 s7, s6, 31
	s_lshl_b64 s[36:37], s[6:7], 2
	s_add_u32 s39, s28, s36
	s_addc_u32 s40, s29, s37
	s_mul_i32 s36, s6, s31
	s_mul_hi_u32 s37, s6, s30
	s_add_i32 s36, s37, s36
	s_mul_i32 s7, s7, s30
	s_add_i32 s7, s36, s7
	s_mul_i32 s6, s6, s30
	s_lshl_b64 s[6:7], s[6:7], 2
	s_movk_i32 s16, 0xff
	s_movk_i32 s18, 0x1ff
	;; [unrolled: 1-line block ×3, first 2 shown]
	s_add_u32 s41, s28, s6
	v_cmp_ne_u32_e64 s[0:1], 0, v0
	v_add_u32_e32 v8, -4, v6
	v_add_u32_e32 v9, -4, v7
	v_cmp_lt_u32_e64 s[2:3], 1, v0
	v_add_u32_e32 v10, -8, v6
	v_add_u32_e32 v11, -8, v7
	v_cmp_lt_u32_e64 s[4:5], 3, v0
	;; [unrolled: 3-line block ×3, first 2 shown]
	v_subrev_u32_e32 v14, 32, v6
	v_subrev_u32_e32 v15, 32, v7
	v_cmp_lt_u32_e64 s[8:9], 15, v0
	v_subrev_u32_e32 v16, 64, v6
	v_subrev_u32_e32 v17, 64, v7
	v_cmp_lt_u32_e64 s[10:11], 31, v0
	v_add_u32_e32 v18, 0xffffff80, v6
	v_add_u32_e32 v19, 0xffffff80, v7
	v_cmp_lt_u32_e64 s[12:13], 63, v0
	v_add_u32_e32 v20, 0xffffff00, v6
	v_add_u32_e32 v21, 0xffffff00, v7
	;; [unrolled: 3-line block ×5, first 2 shown]
	v_cmp_ne_u32_e64 s[20:21], s20, v0
	s_addc_u32 s42, s29, s7
	s_mov_b64 s[28:29], 0
	v_mov_b32_e32 v28, s25
	v_mov_b32_e32 v29, s27
	s_branch .LBB15_4
.LBB15_2:                               ;   in Loop: Header=BB15_4 Depth=1
	global_load_dword v1, v[4:5], off
	ds_read_b32 v2, v7
	s_waitcnt vmcnt(0) lgkmcnt(0)
	v_add_u32_e32 v1, v2, v1
	global_store_dword v[4:5], v1, off
.LBB15_3:                               ;   in Loop: Header=BB15_4 Depth=1
	s_or_b64 exec, exec, s[6:7]
	v_add_u32_e32 v0, 0x400, v0
	v_cmp_le_i32_e32 vcc, s33, v0
	s_or_b64 s[28:29], vcc, s[28:29]
	s_barrier
	s_andn2_b64 exec, exec, s[28:29]
	s_cbranch_execz .LBB15_51
.LBB15_4:                               ; =>This Inner Loop Header: Depth=1
	v_ashrrev_i32_e32 v1, 31, v0
	v_lshlrev_b64 v[4:5], 2, v[0:1]
	v_add_co_u32_e32 v4, vcc, s24, v4
	v_addc_co_u32_e32 v5, vcc, v28, v5, vcc
	global_load_dword v2, v[4:5], off
	v_add_u32_e32 v4, s38, v0
	v_ashrrev_i32_e32 v5, 31, v4
	v_lshlrev_b64 v[4:5], 2, v[4:5]
	v_add_co_u32_e32 v4, vcc, s26, v4
	v_addc_co_u32_e32 v5, vcc, v29, v5, vcc
	global_load_dword v4, v[4:5], off
	v_mov_b32_e32 v1, 0
	s_waitcnt vmcnt(1)
	ds_write_b32 v6, v2
	s_waitcnt vmcnt(0)
	ds_write_b32 v7, v4
	v_mov_b32_e32 v2, 0
	s_waitcnt lgkmcnt(0)
	s_barrier
	s_and_saveexec_b64 s[6:7], s[0:1]
	s_cbranch_execz .LBB15_8
; %bb.5:                                ;   in Loop: Header=BB15_4 Depth=1
	ds_read2_b32 v[4:5], v8 offset1:1
	v_mov_b32_e32 v2, 0
	s_waitcnt lgkmcnt(0)
	v_cmp_eq_u32_e32 vcc, v5, v4
	s_and_saveexec_b64 s[36:37], vcc
	s_cbranch_execz .LBB15_7
; %bb.6:                                ;   in Loop: Header=BB15_4 Depth=1
	ds_read_b32 v2, v9
.LBB15_7:                               ;   in Loop: Header=BB15_4 Depth=1
	s_or_b64 exec, exec, s[36:37]
.LBB15_8:                               ;   in Loop: Header=BB15_4 Depth=1
	s_or_b64 exec, exec, s[6:7]
	s_waitcnt lgkmcnt(0)
	s_barrier
	ds_read_b32 v4, v7
	s_waitcnt lgkmcnt(0)
	v_add_u32_e32 v2, v4, v2
	ds_write_b32 v7, v2
	s_waitcnt lgkmcnt(0)
	s_barrier
	s_and_saveexec_b64 s[6:7], s[2:3]
	s_cbranch_execz .LBB15_12
; %bb.9:                                ;   in Loop: Header=BB15_4 Depth=1
	ds_read_b32 v1, v6
	ds_read_b32 v2, v10
	s_waitcnt lgkmcnt(0)
	v_cmp_eq_u32_e32 vcc, v1, v2
	v_mov_b32_e32 v1, 0
	s_and_saveexec_b64 s[36:37], vcc
	s_cbranch_execz .LBB15_11
; %bb.10:                               ;   in Loop: Header=BB15_4 Depth=1
	ds_read_b32 v1, v11
.LBB15_11:                              ;   in Loop: Header=BB15_4 Depth=1
	s_or_b64 exec, exec, s[36:37]
.LBB15_12:                              ;   in Loop: Header=BB15_4 Depth=1
	s_or_b64 exec, exec, s[6:7]
	s_waitcnt lgkmcnt(0)
	s_barrier
	ds_read_b32 v2, v7
	s_waitcnt lgkmcnt(0)
	v_add_u32_e32 v1, v2, v1
	ds_write_b32 v7, v1
	v_mov_b32_e32 v1, 0
	v_mov_b32_e32 v2, 0
	s_waitcnt lgkmcnt(0)
	s_barrier
	s_and_saveexec_b64 s[6:7], s[4:5]
	s_cbranch_execz .LBB15_16
; %bb.13:                               ;   in Loop: Header=BB15_4 Depth=1
	ds_read_b32 v2, v6
	ds_read_b32 v4, v12
	s_waitcnt lgkmcnt(0)
	v_cmp_eq_u32_e32 vcc, v2, v4
	v_mov_b32_e32 v2, 0
	s_and_saveexec_b64 s[36:37], vcc
	s_cbranch_execz .LBB15_15
; %bb.14:                               ;   in Loop: Header=BB15_4 Depth=1
	ds_read_b32 v2, v13
.LBB15_15:                              ;   in Loop: Header=BB15_4 Depth=1
	s_or_b64 exec, exec, s[36:37]
.LBB15_16:                              ;   in Loop: Header=BB15_4 Depth=1
	s_or_b64 exec, exec, s[6:7]
	s_waitcnt lgkmcnt(0)
	s_barrier
	ds_read_b32 v4, v7
	s_waitcnt lgkmcnt(0)
	v_add_u32_e32 v2, v4, v2
	ds_write_b32 v7, v2
	s_waitcnt lgkmcnt(0)
	s_barrier
	s_and_saveexec_b64 s[6:7], s[22:23]
	s_cbranch_execz .LBB15_20
; %bb.17:                               ;   in Loop: Header=BB15_4 Depth=1
	ds_read_b32 v1, v6
	ds_read_b32 v2, v14
	s_waitcnt lgkmcnt(0)
	v_cmp_eq_u32_e32 vcc, v1, v2
	v_mov_b32_e32 v1, 0
	s_and_saveexec_b64 s[36:37], vcc
	s_cbranch_execz .LBB15_19
; %bb.18:                               ;   in Loop: Header=BB15_4 Depth=1
	ds_read_b32 v1, v15
.LBB15_19:                              ;   in Loop: Header=BB15_4 Depth=1
	s_or_b64 exec, exec, s[36:37]
.LBB15_20:                              ;   in Loop: Header=BB15_4 Depth=1
	s_or_b64 exec, exec, s[6:7]
	s_waitcnt lgkmcnt(0)
	s_barrier
	ds_read_b32 v2, v7
	s_waitcnt lgkmcnt(0)
	v_add_u32_e32 v1, v2, v1
	ds_write_b32 v7, v1
	v_mov_b32_e32 v1, 0
	v_mov_b32_e32 v2, 0
	s_waitcnt lgkmcnt(0)
	s_barrier
	s_and_saveexec_b64 s[6:7], s[8:9]
	s_cbranch_execz .LBB15_24
; %bb.21:                               ;   in Loop: Header=BB15_4 Depth=1
	ds_read_b32 v2, v6
	ds_read_b32 v4, v16
	s_waitcnt lgkmcnt(0)
	v_cmp_eq_u32_e32 vcc, v2, v4
	v_mov_b32_e32 v2, 0
	s_and_saveexec_b64 s[36:37], vcc
	s_cbranch_execz .LBB15_23
; %bb.22:                               ;   in Loop: Header=BB15_4 Depth=1
	ds_read_b32 v2, v17
.LBB15_23:                              ;   in Loop: Header=BB15_4 Depth=1
	s_or_b64 exec, exec, s[36:37]
.LBB15_24:                              ;   in Loop: Header=BB15_4 Depth=1
	s_or_b64 exec, exec, s[6:7]
	s_waitcnt lgkmcnt(0)
	s_barrier
	ds_read_b32 v4, v7
	s_waitcnt lgkmcnt(0)
	v_add_u32_e32 v2, v4, v2
	ds_write_b32 v7, v2
	s_waitcnt lgkmcnt(0)
	s_barrier
	s_and_saveexec_b64 s[6:7], s[10:11]
	s_cbranch_execz .LBB15_28
; %bb.25:                               ;   in Loop: Header=BB15_4 Depth=1
	ds_read_b32 v1, v6
	ds_read_b32 v2, v18
	s_waitcnt lgkmcnt(0)
	v_cmp_eq_u32_e32 vcc, v1, v2
	v_mov_b32_e32 v1, 0
	s_and_saveexec_b64 s[36:37], vcc
	s_cbranch_execz .LBB15_27
; %bb.26:                               ;   in Loop: Header=BB15_4 Depth=1
	ds_read_b32 v1, v19
.LBB15_27:                              ;   in Loop: Header=BB15_4 Depth=1
	s_or_b64 exec, exec, s[36:37]
.LBB15_28:                              ;   in Loop: Header=BB15_4 Depth=1
	;; [unrolled: 50-line block ×4, first 2 shown]
	s_or_b64 exec, exec, s[6:7]
	s_waitcnt lgkmcnt(0)
	s_barrier
	ds_read_b32 v2, v7
	s_waitcnt lgkmcnt(0)
	v_add_u32_e32 v1, v2, v1
	ds_write_b32 v7, v1
	s_waitcnt lgkmcnt(0)
	s_barrier
	ds_read_b32 v2, v6
	v_mov_b32_e32 v1, -1
	s_and_saveexec_b64 s[6:7], s[20:21]
	s_cbranch_execz .LBB15_46
; %bb.45:                               ;   in Loop: Header=BB15_4 Depth=1
	ds_read_b32 v1, v6 offset:4
.LBB15_46:                              ;   in Loop: Header=BB15_4 Depth=1
	s_or_b64 exec, exec, s[6:7]
	s_waitcnt lgkmcnt(0)
	v_cmp_ne_u32_e32 vcc, v2, v1
	v_cmp_lt_i32_e64 s[6:7], -1, v2
	s_and_b64 s[36:37], s[6:7], vcc
	s_and_saveexec_b64 s[6:7], s[36:37]
	s_cbranch_execz .LBB15_3
; %bb.47:                               ;   in Loop: Header=BB15_4 Depth=1
	s_and_b64 vcc, exec, s[34:35]
	s_cbranch_vccz .LBB15_49
; %bb.48:                               ;   in Loop: Header=BB15_4 Depth=1
	v_mad_u64_u32 v[4:5], s[36:37], v2, s30, 0
	v_mov_b32_e32 v30, v5
	v_mad_u64_u32 v[30:31], s[36:37], v2, s31, v[30:31]
	v_mov_b32_e32 v5, v30
	v_lshlrev_b64 v[4:5], 2, v[4:5]
	v_mov_b32_e32 v1, s40
	v_add_co_u32_e32 v4, vcc, s39, v4
	v_addc_co_u32_e32 v5, vcc, v1, v5, vcc
	s_cbranch_execnz .LBB15_2
	s_branch .LBB15_50
.LBB15_49:                              ;   in Loop: Header=BB15_4 Depth=1
                                        ; implicit-def: $vgpr4_vgpr5
.LBB15_50:                              ;   in Loop: Header=BB15_4 Depth=1
	v_lshlrev_b64 v[4:5], 2, v[2:3]
	v_mov_b32_e32 v1, s42
	v_add_co_u32_e32 v4, vcc, s41, v4
	v_addc_co_u32_e32 v5, vcc, v1, v5, vcc
	s_branch .LBB15_2
.LBB15_51:
	s_endpgm
	.section	.rodata,"a",@progbits
	.p2align	6, 0x0
	.amdhsa_kernel _ZN9rocsparseL28csrmmnn_general_block_reduceILj1024EiiiiEEvT0_PKT1_PKT3_PT2_l16rocsparse_order_
		.amdhsa_group_segment_fixed_size 8192
		.amdhsa_private_segment_fixed_size 0
		.amdhsa_kernarg_size 44
		.amdhsa_user_sgpr_count 6
		.amdhsa_user_sgpr_private_segment_buffer 1
		.amdhsa_user_sgpr_dispatch_ptr 0
		.amdhsa_user_sgpr_queue_ptr 0
		.amdhsa_user_sgpr_kernarg_segment_ptr 1
		.amdhsa_user_sgpr_dispatch_id 0
		.amdhsa_user_sgpr_flat_scratch_init 0
		.amdhsa_user_sgpr_kernarg_preload_length 0
		.amdhsa_user_sgpr_kernarg_preload_offset 0
		.amdhsa_user_sgpr_private_segment_size 0
		.amdhsa_uses_dynamic_stack 0
		.amdhsa_system_sgpr_private_segment_wavefront_offset 0
		.amdhsa_system_sgpr_workgroup_id_x 1
		.amdhsa_system_sgpr_workgroup_id_y 0
		.amdhsa_system_sgpr_workgroup_id_z 0
		.amdhsa_system_sgpr_workgroup_info 0
		.amdhsa_system_vgpr_workitem_id 0
		.amdhsa_next_free_vgpr 32
		.amdhsa_next_free_sgpr 43
		.amdhsa_accum_offset 32
		.amdhsa_reserve_vcc 1
		.amdhsa_reserve_flat_scratch 0
		.amdhsa_float_round_mode_32 0
		.amdhsa_float_round_mode_16_64 0
		.amdhsa_float_denorm_mode_32 3
		.amdhsa_float_denorm_mode_16_64 3
		.amdhsa_dx10_clamp 1
		.amdhsa_ieee_mode 1
		.amdhsa_fp16_overflow 0
		.amdhsa_tg_split 0
		.amdhsa_exception_fp_ieee_invalid_op 0
		.amdhsa_exception_fp_denorm_src 0
		.amdhsa_exception_fp_ieee_div_zero 0
		.amdhsa_exception_fp_ieee_overflow 0
		.amdhsa_exception_fp_ieee_underflow 0
		.amdhsa_exception_fp_ieee_inexact 0
		.amdhsa_exception_int_div_zero 0
	.end_amdhsa_kernel
	.section	.text._ZN9rocsparseL28csrmmnn_general_block_reduceILj1024EiiiiEEvT0_PKT1_PKT3_PT2_l16rocsparse_order_,"axG",@progbits,_ZN9rocsparseL28csrmmnn_general_block_reduceILj1024EiiiiEEvT0_PKT1_PKT3_PT2_l16rocsparse_order_,comdat
.Lfunc_end15:
	.size	_ZN9rocsparseL28csrmmnn_general_block_reduceILj1024EiiiiEEvT0_PKT1_PKT3_PT2_l16rocsparse_order_, .Lfunc_end15-_ZN9rocsparseL28csrmmnn_general_block_reduceILj1024EiiiiEEvT0_PKT1_PKT3_PT2_l16rocsparse_order_
                                        ; -- End function
	.section	.AMDGPU.csdata,"",@progbits
; Kernel info:
; codeLenInByte = 1716
; NumSgprs: 47
; NumVgprs: 32
; NumAgprs: 0
; TotalNumVgprs: 32
; ScratchSize: 0
; MemoryBound: 0
; FloatMode: 240
; IeeeMode: 1
; LDSByteSize: 8192 bytes/workgroup (compile time only)
; SGPRBlocks: 5
; VGPRBlocks: 3
; NumSGPRsForWavesPerEU: 47
; NumVGPRsForWavesPerEU: 32
; AccumOffset: 32
; Occupancy: 8
; WaveLimiterHint : 0
; COMPUTE_PGM_RSRC2:SCRATCH_EN: 0
; COMPUTE_PGM_RSRC2:USER_SGPR: 6
; COMPUTE_PGM_RSRC2:TRAP_HANDLER: 0
; COMPUTE_PGM_RSRC2:TGID_X_EN: 1
; COMPUTE_PGM_RSRC2:TGID_Y_EN: 0
; COMPUTE_PGM_RSRC2:TGID_Z_EN: 0
; COMPUTE_PGM_RSRC2:TIDIG_COMP_CNT: 0
; COMPUTE_PGM_RSRC3_GFX90A:ACCUM_OFFSET: 7
; COMPUTE_PGM_RSRC3_GFX90A:TG_SPLIT: 0
	.section	.text._ZN9rocsparseL28csrmmnn_general_block_reduceILj1024EliiiEEvT0_PKT1_PKT3_PT2_l16rocsparse_order_,"axG",@progbits,_ZN9rocsparseL28csrmmnn_general_block_reduceILj1024EliiiEEvT0_PKT1_PKT3_PT2_l16rocsparse_order_,comdat
	.globl	_ZN9rocsparseL28csrmmnn_general_block_reduceILj1024EliiiEEvT0_PKT1_PKT3_PT2_l16rocsparse_order_ ; -- Begin function _ZN9rocsparseL28csrmmnn_general_block_reduceILj1024EliiiEEvT0_PKT1_PKT3_PT2_l16rocsparse_order_
	.p2align	8
	.type	_ZN9rocsparseL28csrmmnn_general_block_reduceILj1024EliiiEEvT0_PKT1_PKT3_PT2_l16rocsparse_order_,@function
_ZN9rocsparseL28csrmmnn_general_block_reduceILj1024EliiiEEvT0_PKT1_PKT3_PT2_l16rocsparse_order_: ; @_ZN9rocsparseL28csrmmnn_general_block_reduceILj1024EliiiEEvT0_PKT1_PKT3_PT2_l16rocsparse_order_
; %bb.0:
	s_load_dwordx2 s[34:35], s[4:5], 0x0
	v_mov_b32_e32 v2, -1
	v_mov_b32_e32 v1, 0
	v_lshlrev_b32_e32 v10, 3, v0
	v_mov_b32_e32 v3, v2
	ds_write_b64 v10, v[2:3]
	v_lshlrev_b32_e32 v2, 2, v0
	s_waitcnt lgkmcnt(0)
	v_cmp_gt_i64_e32 vcc, s[34:35], v[0:1]
	ds_write_b32 v2, v1 offset:8192
	s_waitcnt lgkmcnt(0)
	s_barrier
	s_and_saveexec_b64 s[0:1], vcc
	s_cbranch_execz .LBB16_51
; %bb.1:
	s_load_dwordx8 s[24:31], s[4:5], 0x8
	s_load_dword s36, s[4:5], 0x28
	s_mov_b32 s7, 0
	s_lshl_b64 s[0:1], s[6:7], 2
	s_movk_i32 s7, 0x7f
	v_cmp_lt_u32_e64 s[14:15], s7, v0
	s_movk_i32 s7, 0xff
	s_waitcnt lgkmcnt(0)
	s_add_u32 s33, s28, s0
	v_cmp_lt_u32_e64 s[16:17], s7, v0
	s_movk_i32 s7, 0x1ff
	s_addc_u32 s38, s29, s1
	v_cmp_lt_u32_e64 s[18:19], s7, v0
	s_movk_i32 s7, 0x3ff
	v_cmp_ne_u32_e64 s[20:21], s7, v0
	s_cmp_lg_u32 s36, 1
	s_mul_i32 s7, s6, s31
	s_mul_hi_u32 s39, s6, s30
	s_cselect_b64 s[36:37], -1, 0
	s_add_i32 s41, s39, s7
	s_mul_i32 s40, s6, s30
	s_lshl_b64 s[40:41], s[40:41], 2
	s_add_u32 s28, s28, s40
	s_mul_i32 s7, s35, s6
	s_mul_hi_u32 s39, s34, s6
	s_addc_u32 s29, s29, s41
	s_add_i32 s7, s39, s7
	s_mul_i32 s6, s34, s6
	s_lshl_b64 s[6:7], s[6:7], 2
	s_add_u32 s6, s26, s6
	v_lshlrev_b32_e32 v4, 2, v0
	s_addc_u32 s7, s27, s7
	v_or_b32_e32 v11, 0x2000, v2
	v_mov_b32_e32 v3, s7
	v_add_co_u32_e32 v2, vcc, s6, v4
	v_addc_co_u32_e32 v3, vcc, 0, v3, vcc
	v_mov_b32_e32 v5, s25
	v_add_co_u32_e32 v4, vcc, s24, v4
	v_cmp_ne_u32_e64 s[0:1], 0, v0
	v_add_u32_e32 v12, -8, v10
	v_add_u32_e32 v13, -4, v11
	v_cmp_lt_u32_e64 s[2:3], 1, v0
	v_add_u32_e32 v14, -16, v10
	v_add_u32_e32 v15, -8, v11
	v_cmp_lt_u32_e64 s[4:5], 3, v0
	v_subrev_u32_e32 v16, 32, v10
	v_add_u32_e32 v17, -16, v11
	v_cmp_lt_u32_e64 s[22:23], 7, v0
	v_subrev_u32_e32 v18, 64, v10
	v_subrev_u32_e32 v19, 32, v11
	v_cmp_lt_u32_e64 s[8:9], 15, v0
	v_add_u32_e32 v20, 0xffffff80, v10
	v_subrev_u32_e32 v21, 64, v11
	v_cmp_lt_u32_e64 s[10:11], 31, v0
	v_add_u32_e32 v22, 0xffffff00, v10
	v_add_u32_e32 v23, 0xffffff80, v11
	v_cmp_lt_u32_e64 s[12:13], 63, v0
	v_add_u32_e32 v24, 0xfffffe00, v10
	v_add_u32_e32 v25, 0xffffff00, v11
	v_add_u32_e32 v26, 0xfffffc00, v10
	v_add_u32_e32 v27, 0xfffffe00, v11
	v_add_u32_e32 v28, 0xfffff800, v10
	v_add_u32_e32 v29, 0xfffffc00, v11
	v_add_u32_e32 v30, 0xfffff000, v10
	v_add_u32_e32 v31, 0xfffff800, v11
	v_addc_co_u32_e32 v5, vcc, 0, v5, vcc
	s_mov_b64 s[24:25], 0
	s_branch .LBB16_4
.LBB16_2:                               ;   in Loop: Header=BB16_4 Depth=1
	global_load_dword v6, v[8:9], off
	ds_read_b32 v7, v11
	s_waitcnt vmcnt(0) lgkmcnt(0)
	v_add_u32_e32 v6, v7, v6
	global_store_dword v[8:9], v6, off
.LBB16_3:                               ;   in Loop: Header=BB16_4 Depth=1
	s_or_b64 exec, exec, s[6:7]
	v_add_co_u32_e32 v0, vcc, 0x400, v0
	v_addc_co_u32_e32 v1, vcc, 0, v1, vcc
	v_add_co_u32_e32 v2, vcc, 0x1000, v2
	v_addc_co_u32_e32 v3, vcc, 0, v3, vcc
	v_add_co_u32_e32 v4, vcc, 0x1000, v4
	v_cmp_le_i64_e64 s[6:7], s[34:35], v[0:1]
	s_or_b64 s[24:25], s[6:7], s[24:25]
	v_addc_co_u32_e32 v5, vcc, 0, v5, vcc
	s_barrier
	s_andn2_b64 exec, exec, s[24:25]
	s_cbranch_execz .LBB16_51
.LBB16_4:                               ; =>This Inner Loop Header: Depth=1
	global_load_dword v8, v[4:5], off
	global_load_dword v7, v[2:3], off
	v_mov_b32_e32 v6, 0
	s_waitcnt vmcnt(1)
	v_ashrrev_i32_e32 v9, 31, v8
	s_waitcnt vmcnt(0)
	ds_write_b32 v11, v7
	ds_write_b64 v10, v[8:9]
	v_mov_b32_e32 v7, 0
	s_waitcnt lgkmcnt(0)
	s_barrier
	s_and_saveexec_b64 s[6:7], s[0:1]
	s_cbranch_execz .LBB16_8
; %bb.5:                                ;   in Loop: Header=BB16_4 Depth=1
	ds_read2_b64 v[32:35], v12 offset1:1
	v_mov_b32_e32 v7, 0
	s_waitcnt lgkmcnt(0)
	v_cmp_eq_u64_e32 vcc, v[34:35], v[32:33]
	s_and_saveexec_b64 s[26:27], vcc
	s_cbranch_execz .LBB16_7
; %bb.6:                                ;   in Loop: Header=BB16_4 Depth=1
	ds_read_b32 v7, v13
.LBB16_7:                               ;   in Loop: Header=BB16_4 Depth=1
	s_or_b64 exec, exec, s[26:27]
.LBB16_8:                               ;   in Loop: Header=BB16_4 Depth=1
	s_or_b64 exec, exec, s[6:7]
	s_waitcnt lgkmcnt(0)
	s_barrier
	ds_read_b32 v8, v11
	s_waitcnt lgkmcnt(0)
	v_add_u32_e32 v7, v8, v7
	ds_write_b32 v11, v7
	s_waitcnt lgkmcnt(0)
	s_barrier
	s_and_saveexec_b64 s[6:7], s[2:3]
	s_cbranch_execz .LBB16_12
; %bb.9:                                ;   in Loop: Header=BB16_4 Depth=1
	ds_read_b64 v[6:7], v10
	ds_read_b64 v[8:9], v14
	s_waitcnt lgkmcnt(0)
	v_cmp_eq_u64_e32 vcc, v[6:7], v[8:9]
	v_mov_b32_e32 v6, 0
	s_and_saveexec_b64 s[26:27], vcc
	s_cbranch_execz .LBB16_11
; %bb.10:                               ;   in Loop: Header=BB16_4 Depth=1
	ds_read_b32 v6, v15
.LBB16_11:                              ;   in Loop: Header=BB16_4 Depth=1
	s_or_b64 exec, exec, s[26:27]
.LBB16_12:                              ;   in Loop: Header=BB16_4 Depth=1
	s_or_b64 exec, exec, s[6:7]
	s_waitcnt lgkmcnt(0)
	s_barrier
	ds_read_b32 v7, v11
	s_waitcnt lgkmcnt(0)
	v_add_u32_e32 v6, v7, v6
	ds_write_b32 v11, v6
	v_mov_b32_e32 v6, 0
	v_mov_b32_e32 v7, 0
	s_waitcnt lgkmcnt(0)
	s_barrier
	s_and_saveexec_b64 s[6:7], s[4:5]
	s_cbranch_execz .LBB16_16
; %bb.13:                               ;   in Loop: Header=BB16_4 Depth=1
	ds_read_b64 v[8:9], v10
	ds_read_b64 v[32:33], v16
	v_mov_b32_e32 v7, 0
	s_waitcnt lgkmcnt(0)
	v_cmp_eq_u64_e32 vcc, v[8:9], v[32:33]
	s_and_saveexec_b64 s[26:27], vcc
	s_cbranch_execz .LBB16_15
; %bb.14:                               ;   in Loop: Header=BB16_4 Depth=1
	ds_read_b32 v7, v17
.LBB16_15:                              ;   in Loop: Header=BB16_4 Depth=1
	s_or_b64 exec, exec, s[26:27]
.LBB16_16:                              ;   in Loop: Header=BB16_4 Depth=1
	s_or_b64 exec, exec, s[6:7]
	s_waitcnt lgkmcnt(0)
	s_barrier
	ds_read_b32 v8, v11
	s_waitcnt lgkmcnt(0)
	v_add_u32_e32 v7, v8, v7
	ds_write_b32 v11, v7
	s_waitcnt lgkmcnt(0)
	s_barrier
	s_and_saveexec_b64 s[6:7], s[22:23]
	s_cbranch_execz .LBB16_20
; %bb.17:                               ;   in Loop: Header=BB16_4 Depth=1
	ds_read_b64 v[6:7], v10
	ds_read_b64 v[8:9], v18
	s_waitcnt lgkmcnt(0)
	v_cmp_eq_u64_e32 vcc, v[6:7], v[8:9]
	v_mov_b32_e32 v6, 0
	s_and_saveexec_b64 s[26:27], vcc
	s_cbranch_execz .LBB16_19
; %bb.18:                               ;   in Loop: Header=BB16_4 Depth=1
	ds_read_b32 v6, v19
.LBB16_19:                              ;   in Loop: Header=BB16_4 Depth=1
	s_or_b64 exec, exec, s[26:27]
.LBB16_20:                              ;   in Loop: Header=BB16_4 Depth=1
	s_or_b64 exec, exec, s[6:7]
	s_waitcnt lgkmcnt(0)
	s_barrier
	ds_read_b32 v7, v11
	s_waitcnt lgkmcnt(0)
	v_add_u32_e32 v6, v7, v6
	ds_write_b32 v11, v6
	v_mov_b32_e32 v6, 0
	v_mov_b32_e32 v7, 0
	s_waitcnt lgkmcnt(0)
	s_barrier
	s_and_saveexec_b64 s[6:7], s[8:9]
	s_cbranch_execz .LBB16_24
; %bb.21:                               ;   in Loop: Header=BB16_4 Depth=1
	ds_read_b64 v[8:9], v10
	ds_read_b64 v[32:33], v20
	v_mov_b32_e32 v7, 0
	s_waitcnt lgkmcnt(0)
	v_cmp_eq_u64_e32 vcc, v[8:9], v[32:33]
	s_and_saveexec_b64 s[26:27], vcc
	s_cbranch_execz .LBB16_23
; %bb.22:                               ;   in Loop: Header=BB16_4 Depth=1
	ds_read_b32 v7, v21
.LBB16_23:                              ;   in Loop: Header=BB16_4 Depth=1
	s_or_b64 exec, exec, s[26:27]
.LBB16_24:                              ;   in Loop: Header=BB16_4 Depth=1
	s_or_b64 exec, exec, s[6:7]
	s_waitcnt lgkmcnt(0)
	s_barrier
	ds_read_b32 v8, v11
	s_waitcnt lgkmcnt(0)
	v_add_u32_e32 v7, v8, v7
	ds_write_b32 v11, v7
	s_waitcnt lgkmcnt(0)
	s_barrier
	s_and_saveexec_b64 s[6:7], s[10:11]
	s_cbranch_execz .LBB16_28
; %bb.25:                               ;   in Loop: Header=BB16_4 Depth=1
	ds_read_b64 v[6:7], v10
	ds_read_b64 v[8:9], v22
	s_waitcnt lgkmcnt(0)
	v_cmp_eq_u64_e32 vcc, v[6:7], v[8:9]
	v_mov_b32_e32 v6, 0
	s_and_saveexec_b64 s[26:27], vcc
	s_cbranch_execz .LBB16_27
; %bb.26:                               ;   in Loop: Header=BB16_4 Depth=1
	ds_read_b32 v6, v23
.LBB16_27:                              ;   in Loop: Header=BB16_4 Depth=1
	s_or_b64 exec, exec, s[26:27]
.LBB16_28:                              ;   in Loop: Header=BB16_4 Depth=1
	;; [unrolled: 50-line block ×4, first 2 shown]
	s_or_b64 exec, exec, s[6:7]
	s_waitcnt lgkmcnt(0)
	s_barrier
	ds_read_b32 v7, v11
	v_pk_mov_b32 v[8:9], -1, -1
	s_waitcnt lgkmcnt(0)
	v_add_u32_e32 v6, v7, v6
	ds_write_b32 v11, v6
	s_waitcnt lgkmcnt(0)
	s_barrier
	ds_read_b64 v[6:7], v10
	s_and_saveexec_b64 s[6:7], s[20:21]
	s_cbranch_execz .LBB16_46
; %bb.45:                               ;   in Loop: Header=BB16_4 Depth=1
	ds_read_b64 v[8:9], v10 offset:8
.LBB16_46:                              ;   in Loop: Header=BB16_4 Depth=1
	s_or_b64 exec, exec, s[6:7]
	s_waitcnt lgkmcnt(0)
	v_cmp_ne_u64_e32 vcc, v[6:7], v[8:9]
	v_cmp_lt_i64_e64 s[6:7], -1, v[6:7]
	s_and_b64 s[26:27], s[6:7], vcc
	s_and_saveexec_b64 s[6:7], s[26:27]
	s_cbranch_execz .LBB16_3
; %bb.47:                               ;   in Loop: Header=BB16_4 Depth=1
	s_and_b64 vcc, exec, s[36:37]
	s_cbranch_vccz .LBB16_49
; %bb.48:                               ;   in Loop: Header=BB16_4 Depth=1
	v_mul_lo_u32 v32, v7, s30
	v_mul_lo_u32 v33, v6, s31
	v_mad_u64_u32 v[8:9], s[26:27], v6, s30, 0
	v_add3_u32 v9, v9, v33, v32
	v_lshlrev_b64 v[8:9], 2, v[8:9]
	v_mov_b32_e32 v32, s38
	v_add_co_u32_e32 v8, vcc, s33, v8
	v_addc_co_u32_e32 v9, vcc, v32, v9, vcc
	s_cbranch_execnz .LBB16_2
	s_branch .LBB16_50
.LBB16_49:                              ;   in Loop: Header=BB16_4 Depth=1
                                        ; implicit-def: $vgpr8_vgpr9
.LBB16_50:                              ;   in Loop: Header=BB16_4 Depth=1
	v_lshlrev_b64 v[6:7], 2, v[6:7]
	v_mov_b32_e32 v9, s29
	v_add_co_u32_e32 v8, vcc, s28, v6
	v_addc_co_u32_e32 v9, vcc, v9, v7, vcc
	s_branch .LBB16_2
.LBB16_51:
	s_endpgm
	.section	.rodata,"a",@progbits
	.p2align	6, 0x0
	.amdhsa_kernel _ZN9rocsparseL28csrmmnn_general_block_reduceILj1024EliiiEEvT0_PKT1_PKT3_PT2_l16rocsparse_order_
		.amdhsa_group_segment_fixed_size 12288
		.amdhsa_private_segment_fixed_size 0
		.amdhsa_kernarg_size 44
		.amdhsa_user_sgpr_count 6
		.amdhsa_user_sgpr_private_segment_buffer 1
		.amdhsa_user_sgpr_dispatch_ptr 0
		.amdhsa_user_sgpr_queue_ptr 0
		.amdhsa_user_sgpr_kernarg_segment_ptr 1
		.amdhsa_user_sgpr_dispatch_id 0
		.amdhsa_user_sgpr_flat_scratch_init 0
		.amdhsa_user_sgpr_kernarg_preload_length 0
		.amdhsa_user_sgpr_kernarg_preload_offset 0
		.amdhsa_user_sgpr_private_segment_size 0
		.amdhsa_uses_dynamic_stack 0
		.amdhsa_system_sgpr_private_segment_wavefront_offset 0
		.amdhsa_system_sgpr_workgroup_id_x 1
		.amdhsa_system_sgpr_workgroup_id_y 0
		.amdhsa_system_sgpr_workgroup_id_z 0
		.amdhsa_system_sgpr_workgroup_info 0
		.amdhsa_system_vgpr_workitem_id 0
		.amdhsa_next_free_vgpr 36
		.amdhsa_next_free_sgpr 42
		.amdhsa_accum_offset 36
		.amdhsa_reserve_vcc 1
		.amdhsa_reserve_flat_scratch 0
		.amdhsa_float_round_mode_32 0
		.amdhsa_float_round_mode_16_64 0
		.amdhsa_float_denorm_mode_32 3
		.amdhsa_float_denorm_mode_16_64 3
		.amdhsa_dx10_clamp 1
		.amdhsa_ieee_mode 1
		.amdhsa_fp16_overflow 0
		.amdhsa_tg_split 0
		.amdhsa_exception_fp_ieee_invalid_op 0
		.amdhsa_exception_fp_denorm_src 0
		.amdhsa_exception_fp_ieee_div_zero 0
		.amdhsa_exception_fp_ieee_overflow 0
		.amdhsa_exception_fp_ieee_underflow 0
		.amdhsa_exception_fp_ieee_inexact 0
		.amdhsa_exception_int_div_zero 0
	.end_amdhsa_kernel
	.section	.text._ZN9rocsparseL28csrmmnn_general_block_reduceILj1024EliiiEEvT0_PKT1_PKT3_PT2_l16rocsparse_order_,"axG",@progbits,_ZN9rocsparseL28csrmmnn_general_block_reduceILj1024EliiiEEvT0_PKT1_PKT3_PT2_l16rocsparse_order_,comdat
.Lfunc_end16:
	.size	_ZN9rocsparseL28csrmmnn_general_block_reduceILj1024EliiiEEvT0_PKT1_PKT3_PT2_l16rocsparse_order_, .Lfunc_end16-_ZN9rocsparseL28csrmmnn_general_block_reduceILj1024EliiiEEvT0_PKT1_PKT3_PT2_l16rocsparse_order_
                                        ; -- End function
	.section	.AMDGPU.csdata,"",@progbits
; Kernel info:
; codeLenInByte = 1780
; NumSgprs: 46
; NumVgprs: 36
; NumAgprs: 0
; TotalNumVgprs: 36
; ScratchSize: 0
; MemoryBound: 0
; FloatMode: 240
; IeeeMode: 1
; LDSByteSize: 12288 bytes/workgroup (compile time only)
; SGPRBlocks: 5
; VGPRBlocks: 4
; NumSGPRsForWavesPerEU: 46
; NumVGPRsForWavesPerEU: 36
; AccumOffset: 36
; Occupancy: 8
; WaveLimiterHint : 0
; COMPUTE_PGM_RSRC2:SCRATCH_EN: 0
; COMPUTE_PGM_RSRC2:USER_SGPR: 6
; COMPUTE_PGM_RSRC2:TRAP_HANDLER: 0
; COMPUTE_PGM_RSRC2:TGID_X_EN: 1
; COMPUTE_PGM_RSRC2:TGID_Y_EN: 0
; COMPUTE_PGM_RSRC2:TGID_Z_EN: 0
; COMPUTE_PGM_RSRC2:TIDIG_COMP_CNT: 0
; COMPUTE_PGM_RSRC3_GFX90A:ACCUM_OFFSET: 8
; COMPUTE_PGM_RSRC3_GFX90A:TG_SPLIT: 0
	.section	.text._ZN9rocsparseL28csrmmnn_general_block_reduceILj1024ElliiEEvT0_PKT1_PKT3_PT2_l16rocsparse_order_,"axG",@progbits,_ZN9rocsparseL28csrmmnn_general_block_reduceILj1024ElliiEEvT0_PKT1_PKT3_PT2_l16rocsparse_order_,comdat
	.globl	_ZN9rocsparseL28csrmmnn_general_block_reduceILj1024ElliiEEvT0_PKT1_PKT3_PT2_l16rocsparse_order_ ; -- Begin function _ZN9rocsparseL28csrmmnn_general_block_reduceILj1024ElliiEEvT0_PKT1_PKT3_PT2_l16rocsparse_order_
	.p2align	8
	.type	_ZN9rocsparseL28csrmmnn_general_block_reduceILj1024ElliiEEvT0_PKT1_PKT3_PT2_l16rocsparse_order_,@function
_ZN9rocsparseL28csrmmnn_general_block_reduceILj1024ElliiEEvT0_PKT1_PKT3_PT2_l16rocsparse_order_: ; @_ZN9rocsparseL28csrmmnn_general_block_reduceILj1024ElliiEEvT0_PKT1_PKT3_PT2_l16rocsparse_order_
; %bb.0:
	s_load_dwordx2 s[34:35], s[4:5], 0x0
	v_mov_b32_e32 v2, -1
	v_mov_b32_e32 v1, 0
	v_lshlrev_b32_e32 v10, 3, v0
	v_mov_b32_e32 v3, v2
	ds_write_b64 v10, v[2:3]
	v_lshlrev_b32_e32 v2, 2, v0
	s_waitcnt lgkmcnt(0)
	v_cmp_gt_i64_e32 vcc, s[34:35], v[0:1]
	ds_write_b32 v2, v1 offset:8192
	s_waitcnt lgkmcnt(0)
	s_barrier
	s_and_saveexec_b64 s[0:1], vcc
	s_cbranch_execz .LBB17_51
; %bb.1:
	s_load_dwordx8 s[24:31], s[4:5], 0x8
	s_load_dword s36, s[4:5], 0x28
	s_mov_b32 s7, 0
	s_lshl_b64 s[0:1], s[6:7], 2
	s_movk_i32 s7, 0x7f
	v_cmp_lt_u32_e64 s[14:15], s7, v0
	s_movk_i32 s7, 0xff
	s_waitcnt lgkmcnt(0)
	s_add_u32 s33, s28, s0
	v_cmp_lt_u32_e64 s[16:17], s7, v0
	s_movk_i32 s7, 0x1ff
	s_addc_u32 s38, s29, s1
	v_cmp_lt_u32_e64 s[18:19], s7, v0
	s_movk_i32 s7, 0x3ff
	v_cmp_ne_u32_e64 s[20:21], s7, v0
	s_cmp_lg_u32 s36, 1
	s_mul_i32 s7, s6, s31
	s_mul_hi_u32 s39, s6, s30
	s_cselect_b64 s[36:37], -1, 0
	s_add_i32 s41, s39, s7
	s_mul_i32 s40, s6, s30
	s_lshl_b64 s[40:41], s[40:41], 2
	s_add_u32 s28, s28, s40
	s_mul_i32 s7, s35, s6
	s_mul_hi_u32 s39, s34, s6
	s_addc_u32 s29, s29, s41
	s_add_i32 s7, s39, s7
	s_mul_i32 s6, s34, s6
	s_lshl_b64 s[6:7], s[6:7], 2
	s_add_u32 s6, s26, s6
	v_or_b32_e32 v11, 0x2000, v2
	v_lshlrev_b32_e32 v2, 2, v0
	s_addc_u32 s7, s27, s7
	v_mov_b32_e32 v3, s7
	v_add_co_u32_e32 v2, vcc, s6, v2
	v_addc_co_u32_e32 v3, vcc, 0, v3, vcc
	v_lshlrev_b32_e32 v4, 3, v0
	v_mov_b32_e32 v5, s25
	v_add_co_u32_e32 v4, vcc, s24, v4
	v_cmp_ne_u32_e64 s[0:1], 0, v0
	v_add_u32_e32 v12, -8, v10
	v_add_u32_e32 v13, -4, v11
	v_cmp_lt_u32_e64 s[2:3], 1, v0
	v_add_u32_e32 v14, -16, v10
	v_add_u32_e32 v15, -8, v11
	v_cmp_lt_u32_e64 s[4:5], 3, v0
	v_subrev_u32_e32 v16, 32, v10
	v_add_u32_e32 v17, -16, v11
	v_cmp_lt_u32_e64 s[22:23], 7, v0
	v_subrev_u32_e32 v18, 64, v10
	v_subrev_u32_e32 v19, 32, v11
	v_cmp_lt_u32_e64 s[8:9], 15, v0
	v_add_u32_e32 v20, 0xffffff80, v10
	v_subrev_u32_e32 v21, 64, v11
	v_cmp_lt_u32_e64 s[10:11], 31, v0
	v_add_u32_e32 v22, 0xffffff00, v10
	v_add_u32_e32 v23, 0xffffff80, v11
	v_cmp_lt_u32_e64 s[12:13], 63, v0
	v_add_u32_e32 v24, 0xfffffe00, v10
	v_add_u32_e32 v25, 0xffffff00, v11
	;; [unrolled: 1-line block ×8, first 2 shown]
	v_addc_co_u32_e32 v5, vcc, 0, v5, vcc
	s_mov_b64 s[24:25], 0
	s_branch .LBB17_4
.LBB17_2:                               ;   in Loop: Header=BB17_4 Depth=1
	global_load_dword v6, v[8:9], off
	ds_read_b32 v7, v11
	s_waitcnt vmcnt(0) lgkmcnt(0)
	v_add_u32_e32 v6, v7, v6
	global_store_dword v[8:9], v6, off
.LBB17_3:                               ;   in Loop: Header=BB17_4 Depth=1
	s_or_b64 exec, exec, s[6:7]
	v_add_co_u32_e32 v0, vcc, 0x400, v0
	v_addc_co_u32_e32 v1, vcc, 0, v1, vcc
	v_add_co_u32_e32 v2, vcc, 0x1000, v2
	v_addc_co_u32_e32 v3, vcc, 0, v3, vcc
	v_add_co_u32_e32 v4, vcc, 0x2000, v4
	v_cmp_le_i64_e64 s[6:7], s[34:35], v[0:1]
	s_or_b64 s[24:25], s[6:7], s[24:25]
	v_addc_co_u32_e32 v5, vcc, 0, v5, vcc
	s_barrier
	s_andn2_b64 exec, exec, s[24:25]
	s_cbranch_execz .LBB17_51
.LBB17_4:                               ; =>This Inner Loop Header: Depth=1
	global_load_dwordx2 v[8:9], v[4:5], off
	global_load_dword v7, v[2:3], off
	v_mov_b32_e32 v6, 0
	s_waitcnt vmcnt(1)
	ds_write_b64 v10, v[8:9]
	s_waitcnt vmcnt(0)
	ds_write_b32 v11, v7
	v_mov_b32_e32 v7, 0
	s_waitcnt lgkmcnt(0)
	s_barrier
	s_and_saveexec_b64 s[6:7], s[0:1]
	s_cbranch_execz .LBB17_8
; %bb.5:                                ;   in Loop: Header=BB17_4 Depth=1
	ds_read2_b64 v[32:35], v12 offset1:1
	v_mov_b32_e32 v7, 0
	s_waitcnt lgkmcnt(0)
	v_cmp_eq_u64_e32 vcc, v[34:35], v[32:33]
	s_and_saveexec_b64 s[26:27], vcc
	s_cbranch_execz .LBB17_7
; %bb.6:                                ;   in Loop: Header=BB17_4 Depth=1
	ds_read_b32 v7, v13
.LBB17_7:                               ;   in Loop: Header=BB17_4 Depth=1
	s_or_b64 exec, exec, s[26:27]
.LBB17_8:                               ;   in Loop: Header=BB17_4 Depth=1
	s_or_b64 exec, exec, s[6:7]
	s_waitcnt lgkmcnt(0)
	s_barrier
	ds_read_b32 v8, v11
	s_waitcnt lgkmcnt(0)
	v_add_u32_e32 v7, v8, v7
	ds_write_b32 v11, v7
	s_waitcnt lgkmcnt(0)
	s_barrier
	s_and_saveexec_b64 s[6:7], s[2:3]
	s_cbranch_execz .LBB17_12
; %bb.9:                                ;   in Loop: Header=BB17_4 Depth=1
	ds_read_b64 v[6:7], v10
	ds_read_b64 v[8:9], v14
	s_waitcnt lgkmcnt(0)
	v_cmp_eq_u64_e32 vcc, v[6:7], v[8:9]
	v_mov_b32_e32 v6, 0
	s_and_saveexec_b64 s[26:27], vcc
	s_cbranch_execz .LBB17_11
; %bb.10:                               ;   in Loop: Header=BB17_4 Depth=1
	ds_read_b32 v6, v15
.LBB17_11:                              ;   in Loop: Header=BB17_4 Depth=1
	s_or_b64 exec, exec, s[26:27]
.LBB17_12:                              ;   in Loop: Header=BB17_4 Depth=1
	s_or_b64 exec, exec, s[6:7]
	s_waitcnt lgkmcnt(0)
	s_barrier
	ds_read_b32 v7, v11
	s_waitcnt lgkmcnt(0)
	v_add_u32_e32 v6, v7, v6
	ds_write_b32 v11, v6
	v_mov_b32_e32 v6, 0
	v_mov_b32_e32 v7, 0
	s_waitcnt lgkmcnt(0)
	s_barrier
	s_and_saveexec_b64 s[6:7], s[4:5]
	s_cbranch_execz .LBB17_16
; %bb.13:                               ;   in Loop: Header=BB17_4 Depth=1
	ds_read_b64 v[8:9], v10
	ds_read_b64 v[32:33], v16
	v_mov_b32_e32 v7, 0
	s_waitcnt lgkmcnt(0)
	v_cmp_eq_u64_e32 vcc, v[8:9], v[32:33]
	s_and_saveexec_b64 s[26:27], vcc
	s_cbranch_execz .LBB17_15
; %bb.14:                               ;   in Loop: Header=BB17_4 Depth=1
	ds_read_b32 v7, v17
.LBB17_15:                              ;   in Loop: Header=BB17_4 Depth=1
	s_or_b64 exec, exec, s[26:27]
.LBB17_16:                              ;   in Loop: Header=BB17_4 Depth=1
	s_or_b64 exec, exec, s[6:7]
	s_waitcnt lgkmcnt(0)
	s_barrier
	ds_read_b32 v8, v11
	s_waitcnt lgkmcnt(0)
	v_add_u32_e32 v7, v8, v7
	ds_write_b32 v11, v7
	s_waitcnt lgkmcnt(0)
	s_barrier
	s_and_saveexec_b64 s[6:7], s[22:23]
	s_cbranch_execz .LBB17_20
; %bb.17:                               ;   in Loop: Header=BB17_4 Depth=1
	ds_read_b64 v[6:7], v10
	ds_read_b64 v[8:9], v18
	s_waitcnt lgkmcnt(0)
	v_cmp_eq_u64_e32 vcc, v[6:7], v[8:9]
	v_mov_b32_e32 v6, 0
	s_and_saveexec_b64 s[26:27], vcc
	s_cbranch_execz .LBB17_19
; %bb.18:                               ;   in Loop: Header=BB17_4 Depth=1
	ds_read_b32 v6, v19
.LBB17_19:                              ;   in Loop: Header=BB17_4 Depth=1
	s_or_b64 exec, exec, s[26:27]
.LBB17_20:                              ;   in Loop: Header=BB17_4 Depth=1
	s_or_b64 exec, exec, s[6:7]
	s_waitcnt lgkmcnt(0)
	s_barrier
	ds_read_b32 v7, v11
	s_waitcnt lgkmcnt(0)
	v_add_u32_e32 v6, v7, v6
	ds_write_b32 v11, v6
	v_mov_b32_e32 v6, 0
	v_mov_b32_e32 v7, 0
	s_waitcnt lgkmcnt(0)
	s_barrier
	s_and_saveexec_b64 s[6:7], s[8:9]
	s_cbranch_execz .LBB17_24
; %bb.21:                               ;   in Loop: Header=BB17_4 Depth=1
	ds_read_b64 v[8:9], v10
	ds_read_b64 v[32:33], v20
	v_mov_b32_e32 v7, 0
	s_waitcnt lgkmcnt(0)
	v_cmp_eq_u64_e32 vcc, v[8:9], v[32:33]
	s_and_saveexec_b64 s[26:27], vcc
	s_cbranch_execz .LBB17_23
; %bb.22:                               ;   in Loop: Header=BB17_4 Depth=1
	ds_read_b32 v7, v21
.LBB17_23:                              ;   in Loop: Header=BB17_4 Depth=1
	s_or_b64 exec, exec, s[26:27]
.LBB17_24:                              ;   in Loop: Header=BB17_4 Depth=1
	s_or_b64 exec, exec, s[6:7]
	s_waitcnt lgkmcnt(0)
	s_barrier
	ds_read_b32 v8, v11
	s_waitcnt lgkmcnt(0)
	v_add_u32_e32 v7, v8, v7
	ds_write_b32 v11, v7
	s_waitcnt lgkmcnt(0)
	s_barrier
	s_and_saveexec_b64 s[6:7], s[10:11]
	s_cbranch_execz .LBB17_28
; %bb.25:                               ;   in Loop: Header=BB17_4 Depth=1
	ds_read_b64 v[6:7], v10
	ds_read_b64 v[8:9], v22
	s_waitcnt lgkmcnt(0)
	v_cmp_eq_u64_e32 vcc, v[6:7], v[8:9]
	v_mov_b32_e32 v6, 0
	s_and_saveexec_b64 s[26:27], vcc
	s_cbranch_execz .LBB17_27
; %bb.26:                               ;   in Loop: Header=BB17_4 Depth=1
	ds_read_b32 v6, v23
.LBB17_27:                              ;   in Loop: Header=BB17_4 Depth=1
	s_or_b64 exec, exec, s[26:27]
.LBB17_28:                              ;   in Loop: Header=BB17_4 Depth=1
	;; [unrolled: 50-line block ×4, first 2 shown]
	s_or_b64 exec, exec, s[6:7]
	s_waitcnt lgkmcnt(0)
	s_barrier
	ds_read_b32 v7, v11
	v_pk_mov_b32 v[8:9], -1, -1
	s_waitcnt lgkmcnt(0)
	v_add_u32_e32 v6, v7, v6
	ds_write_b32 v11, v6
	s_waitcnt lgkmcnt(0)
	s_barrier
	ds_read_b64 v[6:7], v10
	s_and_saveexec_b64 s[6:7], s[20:21]
	s_cbranch_execz .LBB17_46
; %bb.45:                               ;   in Loop: Header=BB17_4 Depth=1
	ds_read_b64 v[8:9], v10 offset:8
.LBB17_46:                              ;   in Loop: Header=BB17_4 Depth=1
	s_or_b64 exec, exec, s[6:7]
	s_waitcnt lgkmcnt(0)
	v_cmp_ne_u64_e32 vcc, v[6:7], v[8:9]
	v_cmp_lt_i64_e64 s[6:7], -1, v[6:7]
	s_and_b64 s[26:27], s[6:7], vcc
	s_and_saveexec_b64 s[6:7], s[26:27]
	s_cbranch_execz .LBB17_3
; %bb.47:                               ;   in Loop: Header=BB17_4 Depth=1
	s_and_b64 vcc, exec, s[36:37]
	s_cbranch_vccz .LBB17_49
; %bb.48:                               ;   in Loop: Header=BB17_4 Depth=1
	v_mul_lo_u32 v32, v7, s30
	v_mul_lo_u32 v33, v6, s31
	v_mad_u64_u32 v[8:9], s[26:27], v6, s30, 0
	v_add3_u32 v9, v9, v33, v32
	v_lshlrev_b64 v[8:9], 2, v[8:9]
	v_mov_b32_e32 v32, s38
	v_add_co_u32_e32 v8, vcc, s33, v8
	v_addc_co_u32_e32 v9, vcc, v32, v9, vcc
	s_cbranch_execnz .LBB17_2
	s_branch .LBB17_50
.LBB17_49:                              ;   in Loop: Header=BB17_4 Depth=1
                                        ; implicit-def: $vgpr8_vgpr9
.LBB17_50:                              ;   in Loop: Header=BB17_4 Depth=1
	v_lshlrev_b64 v[6:7], 2, v[6:7]
	v_mov_b32_e32 v9, s29
	v_add_co_u32_e32 v8, vcc, s28, v6
	v_addc_co_u32_e32 v9, vcc, v9, v7, vcc
	s_branch .LBB17_2
.LBB17_51:
	s_endpgm
	.section	.rodata,"a",@progbits
	.p2align	6, 0x0
	.amdhsa_kernel _ZN9rocsparseL28csrmmnn_general_block_reduceILj1024ElliiEEvT0_PKT1_PKT3_PT2_l16rocsparse_order_
		.amdhsa_group_segment_fixed_size 12288
		.amdhsa_private_segment_fixed_size 0
		.amdhsa_kernarg_size 44
		.amdhsa_user_sgpr_count 6
		.amdhsa_user_sgpr_private_segment_buffer 1
		.amdhsa_user_sgpr_dispatch_ptr 0
		.amdhsa_user_sgpr_queue_ptr 0
		.amdhsa_user_sgpr_kernarg_segment_ptr 1
		.amdhsa_user_sgpr_dispatch_id 0
		.amdhsa_user_sgpr_flat_scratch_init 0
		.amdhsa_user_sgpr_kernarg_preload_length 0
		.amdhsa_user_sgpr_kernarg_preload_offset 0
		.amdhsa_user_sgpr_private_segment_size 0
		.amdhsa_uses_dynamic_stack 0
		.amdhsa_system_sgpr_private_segment_wavefront_offset 0
		.amdhsa_system_sgpr_workgroup_id_x 1
		.amdhsa_system_sgpr_workgroup_id_y 0
		.amdhsa_system_sgpr_workgroup_id_z 0
		.amdhsa_system_sgpr_workgroup_info 0
		.amdhsa_system_vgpr_workitem_id 0
		.amdhsa_next_free_vgpr 36
		.amdhsa_next_free_sgpr 42
		.amdhsa_accum_offset 36
		.amdhsa_reserve_vcc 1
		.amdhsa_reserve_flat_scratch 0
		.amdhsa_float_round_mode_32 0
		.amdhsa_float_round_mode_16_64 0
		.amdhsa_float_denorm_mode_32 3
		.amdhsa_float_denorm_mode_16_64 3
		.amdhsa_dx10_clamp 1
		.amdhsa_ieee_mode 1
		.amdhsa_fp16_overflow 0
		.amdhsa_tg_split 0
		.amdhsa_exception_fp_ieee_invalid_op 0
		.amdhsa_exception_fp_denorm_src 0
		.amdhsa_exception_fp_ieee_div_zero 0
		.amdhsa_exception_fp_ieee_overflow 0
		.amdhsa_exception_fp_ieee_underflow 0
		.amdhsa_exception_fp_ieee_inexact 0
		.amdhsa_exception_int_div_zero 0
	.end_amdhsa_kernel
	.section	.text._ZN9rocsparseL28csrmmnn_general_block_reduceILj1024ElliiEEvT0_PKT1_PKT3_PT2_l16rocsparse_order_,"axG",@progbits,_ZN9rocsparseL28csrmmnn_general_block_reduceILj1024ElliiEEvT0_PKT1_PKT3_PT2_l16rocsparse_order_,comdat
.Lfunc_end17:
	.size	_ZN9rocsparseL28csrmmnn_general_block_reduceILj1024ElliiEEvT0_PKT1_PKT3_PT2_l16rocsparse_order_, .Lfunc_end17-_ZN9rocsparseL28csrmmnn_general_block_reduceILj1024ElliiEEvT0_PKT1_PKT3_PT2_l16rocsparse_order_
                                        ; -- End function
	.section	.AMDGPU.csdata,"",@progbits
; Kernel info:
; codeLenInByte = 1780
; NumSgprs: 46
; NumVgprs: 36
; NumAgprs: 0
; TotalNumVgprs: 36
; ScratchSize: 0
; MemoryBound: 0
; FloatMode: 240
; IeeeMode: 1
; LDSByteSize: 12288 bytes/workgroup (compile time only)
; SGPRBlocks: 5
; VGPRBlocks: 4
; NumSGPRsForWavesPerEU: 46
; NumVGPRsForWavesPerEU: 36
; AccumOffset: 36
; Occupancy: 8
; WaveLimiterHint : 0
; COMPUTE_PGM_RSRC2:SCRATCH_EN: 0
; COMPUTE_PGM_RSRC2:USER_SGPR: 6
; COMPUTE_PGM_RSRC2:TRAP_HANDLER: 0
; COMPUTE_PGM_RSRC2:TGID_X_EN: 1
; COMPUTE_PGM_RSRC2:TGID_Y_EN: 0
; COMPUTE_PGM_RSRC2:TGID_Z_EN: 0
; COMPUTE_PGM_RSRC2:TIDIG_COMP_CNT: 0
; COMPUTE_PGM_RSRC3_GFX90A:ACCUM_OFFSET: 8
; COMPUTE_PGM_RSRC3_GFX90A:TG_SPLIT: 0
	.text
	.p2alignl 6, 3212836864
	.fill 256, 4, 3212836864
	.type	__hip_cuid_34d6d5fee3d61920,@object ; @__hip_cuid_34d6d5fee3d61920
	.section	.bss,"aw",@nobits
	.globl	__hip_cuid_34d6d5fee3d61920
__hip_cuid_34d6d5fee3d61920:
	.byte	0                               ; 0x0
	.size	__hip_cuid_34d6d5fee3d61920, 1

	.ident	"AMD clang version 19.0.0git (https://github.com/RadeonOpenCompute/llvm-project roc-6.4.0 25133 c7fe45cf4b819c5991fe208aaa96edf142730f1d)"
	.section	".note.GNU-stack","",@progbits
	.addrsig
	.addrsig_sym __hip_cuid_34d6d5fee3d61920
	.amdgpu_metadata
---
amdhsa.kernels:
  - .agpr_count:     0
    .args:
      - .offset:         0
        .size:           4
        .value_kind:     by_value
      - .offset:         4
        .size:           4
        .value_kind:     by_value
      - .offset:         8
        .size:           4
        .value_kind:     by_value
      - .actual_access:  read_only
        .address_space:  global
        .offset:         16
        .size:           8
        .value_kind:     global_buffer
      - .actual_access:  write_only
        .address_space:  global
        .offset:         24
        .size:           8
        .value_kind:     global_buffer
      - .offset:         32
        .size:           4
        .value_kind:     by_value
    .group_segment_fixed_size: 0
    .kernarg_segment_align: 8
    .kernarg_segment_size: 36
    .language:       OpenCL C
    .language_version:
      - 2
      - 0
    .max_flat_workgroup_size: 256
    .name:           _ZN9rocsparseL36csrmmnn_nnz_split_compute_row_limitsILj256ELj256EiiEEvT2_T1_S2_PKS2_PS1_21rocsparse_index_base_
    .private_segment_fixed_size: 0
    .sgpr_count:     19
    .sgpr_spill_count: 0
    .symbol:         _ZN9rocsparseL36csrmmnn_nnz_split_compute_row_limitsILj256ELj256EiiEEvT2_T1_S2_PKS2_PS1_21rocsparse_index_base_.kd
    .uniform_work_group_size: 1
    .uses_dynamic_stack: false
    .vgpr_count:     10
    .vgpr_spill_count: 0
    .wavefront_size: 64
  - .agpr_count:     0
    .args:
      - .offset:         0
        .size:           4
        .value_kind:     by_value
      - .offset:         8
        .size:           8
        .value_kind:     by_value
      - .offset:         16
        .size:           8
        .value_kind:     by_value
      - .actual_access:  read_only
        .address_space:  global
        .offset:         24
        .size:           8
        .value_kind:     global_buffer
      - .actual_access:  write_only
        .address_space:  global
        .offset:         32
        .size:           8
        .value_kind:     global_buffer
      - .offset:         40
        .size:           4
        .value_kind:     by_value
    .group_segment_fixed_size: 0
    .kernarg_segment_align: 8
    .kernarg_segment_size: 44
    .language:       OpenCL C
    .language_version:
      - 2
      - 0
    .max_flat_workgroup_size: 256
    .name:           _ZN9rocsparseL36csrmmnn_nnz_split_compute_row_limitsILj256ELj256EliEEvT2_T1_S2_PKS2_PS1_21rocsparse_index_base_
    .private_segment_fixed_size: 0
    .sgpr_count:     19
    .sgpr_spill_count: 0
    .symbol:         _ZN9rocsparseL36csrmmnn_nnz_split_compute_row_limitsILj256ELj256EliEEvT2_T1_S2_PKS2_PS1_21rocsparse_index_base_.kd
    .uniform_work_group_size: 1
    .uses_dynamic_stack: false
    .vgpr_count:     12
    .vgpr_spill_count: 0
    .wavefront_size: 64
  - .agpr_count:     0
    .args:
      - .offset:         0
        .size:           8
        .value_kind:     by_value
      - .offset:         8
        .size:           8
        .value_kind:     by_value
      - .offset:         16
        .size:           8
        .value_kind:     by_value
      - .actual_access:  read_only
        .address_space:  global
        .offset:         24
        .size:           8
        .value_kind:     global_buffer
      - .actual_access:  write_only
        .address_space:  global
        .offset:         32
        .size:           8
        .value_kind:     global_buffer
      - .offset:         40
        .size:           4
        .value_kind:     by_value
    .group_segment_fixed_size: 0
    .kernarg_segment_align: 8
    .kernarg_segment_size: 44
    .language:       OpenCL C
    .language_version:
      - 2
      - 0
    .max_flat_workgroup_size: 256
    .name:           _ZN9rocsparseL36csrmmnn_nnz_split_compute_row_limitsILj256ELj256EllEEvT2_T1_S2_PKS2_PS1_21rocsparse_index_base_
    .private_segment_fixed_size: 0
    .sgpr_count:     20
    .sgpr_spill_count: 0
    .symbol:         _ZN9rocsparseL36csrmmnn_nnz_split_compute_row_limitsILj256ELj256EllEEvT2_T1_S2_PKS2_PS1_21rocsparse_index_base_.kd
    .uniform_work_group_size: 1
    .uses_dynamic_stack: false
    .vgpr_count:     14
    .vgpr_spill_count: 0
    .wavefront_size: 64
  - .agpr_count:     0
    .args:
      - .offset:         0
        .size:           4
        .value_kind:     by_value
      - .actual_access:  read_only
        .address_space:  global
        .offset:         8
        .size:           8
        .value_kind:     global_buffer
      - .actual_access:  read_only
        .address_space:  global
        .offset:         16
        .size:           8
        .value_kind:     global_buffer
      - .address_space:  global
        .offset:         24
        .size:           8
        .value_kind:     global_buffer
      - .offset:         32
        .size:           8
        .value_kind:     by_value
      - .offset:         40
        .size:           4
        .value_kind:     by_value
    .group_segment_fixed_size: 8192
    .kernarg_segment_align: 8
    .kernarg_segment_size: 44
    .language:       OpenCL C
    .language_version:
      - 2
      - 0
    .max_flat_workgroup_size: 1024
    .name:           _ZN9rocsparseL28csrmmnn_general_block_reduceILj1024EiiffEEvT0_PKT1_PKT3_PT2_l16rocsparse_order_
    .private_segment_fixed_size: 0
    .sgpr_count:     47
    .sgpr_spill_count: 0
    .symbol:         _ZN9rocsparseL28csrmmnn_general_block_reduceILj1024EiiffEEvT0_PKT1_PKT3_PT2_l16rocsparse_order_.kd
    .uniform_work_group_size: 1
    .uses_dynamic_stack: false
    .vgpr_count:     32
    .vgpr_spill_count: 0
    .wavefront_size: 64
  - .agpr_count:     0
    .args:
      - .offset:         0
        .size:           8
        .value_kind:     by_value
      - .actual_access:  read_only
        .address_space:  global
        .offset:         8
        .size:           8
        .value_kind:     global_buffer
      - .actual_access:  read_only
        .address_space:  global
        .offset:         16
        .size:           8
        .value_kind:     global_buffer
      - .address_space:  global
        .offset:         24
        .size:           8
        .value_kind:     global_buffer
      - .offset:         32
        .size:           8
        .value_kind:     by_value
      - .offset:         40
        .size:           4
        .value_kind:     by_value
    .group_segment_fixed_size: 12288
    .kernarg_segment_align: 8
    .kernarg_segment_size: 44
    .language:       OpenCL C
    .language_version:
      - 2
      - 0
    .max_flat_workgroup_size: 1024
    .name:           _ZN9rocsparseL28csrmmnn_general_block_reduceILj1024EliffEEvT0_PKT1_PKT3_PT2_l16rocsparse_order_
    .private_segment_fixed_size: 0
    .sgpr_count:     46
    .sgpr_spill_count: 0
    .symbol:         _ZN9rocsparseL28csrmmnn_general_block_reduceILj1024EliffEEvT0_PKT1_PKT3_PT2_l16rocsparse_order_.kd
    .uniform_work_group_size: 1
    .uses_dynamic_stack: false
    .vgpr_count:     36
    .vgpr_spill_count: 0
    .wavefront_size: 64
  - .agpr_count:     0
    .args:
      - .offset:         0
        .size:           8
        .value_kind:     by_value
      - .actual_access:  read_only
        .address_space:  global
        .offset:         8
        .size:           8
        .value_kind:     global_buffer
      - .actual_access:  read_only
        .address_space:  global
        .offset:         16
        .size:           8
        .value_kind:     global_buffer
      - .address_space:  global
        .offset:         24
        .size:           8
        .value_kind:     global_buffer
      - .offset:         32
        .size:           8
        .value_kind:     by_value
      - .offset:         40
        .size:           4
        .value_kind:     by_value
    .group_segment_fixed_size: 12288
    .kernarg_segment_align: 8
    .kernarg_segment_size: 44
    .language:       OpenCL C
    .language_version:
      - 2
      - 0
    .max_flat_workgroup_size: 1024
    .name:           _ZN9rocsparseL28csrmmnn_general_block_reduceILj1024EllffEEvT0_PKT1_PKT3_PT2_l16rocsparse_order_
    .private_segment_fixed_size: 0
    .sgpr_count:     46
    .sgpr_spill_count: 0
    .symbol:         _ZN9rocsparseL28csrmmnn_general_block_reduceILj1024EllffEEvT0_PKT1_PKT3_PT2_l16rocsparse_order_.kd
    .uniform_work_group_size: 1
    .uses_dynamic_stack: false
    .vgpr_count:     36
    .vgpr_spill_count: 0
    .wavefront_size: 64
  - .agpr_count:     0
    .args:
      - .offset:         0
        .size:           4
        .value_kind:     by_value
      - .actual_access:  read_only
        .address_space:  global
        .offset:         8
        .size:           8
        .value_kind:     global_buffer
      - .actual_access:  read_only
        .address_space:  global
        .offset:         16
        .size:           8
        .value_kind:     global_buffer
      - .address_space:  global
        .offset:         24
        .size:           8
        .value_kind:     global_buffer
      - .offset:         32
        .size:           8
        .value_kind:     by_value
      - .offset:         40
        .size:           4
        .value_kind:     by_value
    .group_segment_fixed_size: 12288
    .kernarg_segment_align: 8
    .kernarg_segment_size: 44
    .language:       OpenCL C
    .language_version:
      - 2
      - 0
    .max_flat_workgroup_size: 1024
    .name:           _ZN9rocsparseL28csrmmnn_general_block_reduceILj1024EiiddEEvT0_PKT1_PKT3_PT2_l16rocsparse_order_
    .private_segment_fixed_size: 0
    .sgpr_count:     47
    .sgpr_spill_count: 0
    .symbol:         _ZN9rocsparseL28csrmmnn_general_block_reduceILj1024EiiddEEvT0_PKT1_PKT3_PT2_l16rocsparse_order_.kd
    .uniform_work_group_size: 1
    .uses_dynamic_stack: false
    .vgpr_count:     34
    .vgpr_spill_count: 0
    .wavefront_size: 64
  - .agpr_count:     0
    .args:
      - .offset:         0
        .size:           8
        .value_kind:     by_value
      - .actual_access:  read_only
        .address_space:  global
        .offset:         8
        .size:           8
        .value_kind:     global_buffer
      - .actual_access:  read_only
        .address_space:  global
        .offset:         16
        .size:           8
        .value_kind:     global_buffer
      - .address_space:  global
        .offset:         24
        .size:           8
        .value_kind:     global_buffer
      - .offset:         32
        .size:           8
        .value_kind:     by_value
      - .offset:         40
        .size:           4
        .value_kind:     by_value
    .group_segment_fixed_size: 16384
    .kernarg_segment_align: 8
    .kernarg_segment_size: 44
    .language:       OpenCL C
    .language_version:
      - 2
      - 0
    .max_flat_workgroup_size: 1024
    .name:           _ZN9rocsparseL28csrmmnn_general_block_reduceILj1024EliddEEvT0_PKT1_PKT3_PT2_l16rocsparse_order_
    .private_segment_fixed_size: 0
    .sgpr_count:     46
    .sgpr_spill_count: 0
    .symbol:         _ZN9rocsparseL28csrmmnn_general_block_reduceILj1024EliddEEvT0_PKT1_PKT3_PT2_l16rocsparse_order_.kd
    .uniform_work_group_size: 1
    .uses_dynamic_stack: false
    .vgpr_count:     36
    .vgpr_spill_count: 0
    .wavefront_size: 64
  - .agpr_count:     0
    .args:
      - .offset:         0
        .size:           8
        .value_kind:     by_value
      - .actual_access:  read_only
        .address_space:  global
        .offset:         8
        .size:           8
        .value_kind:     global_buffer
      - .actual_access:  read_only
        .address_space:  global
        .offset:         16
        .size:           8
        .value_kind:     global_buffer
      - .address_space:  global
        .offset:         24
        .size:           8
        .value_kind:     global_buffer
      - .offset:         32
        .size:           8
        .value_kind:     by_value
      - .offset:         40
        .size:           4
        .value_kind:     by_value
    .group_segment_fixed_size: 16384
    .kernarg_segment_align: 8
    .kernarg_segment_size: 44
    .language:       OpenCL C
    .language_version:
      - 2
      - 0
    .max_flat_workgroup_size: 1024
    .name:           _ZN9rocsparseL28csrmmnn_general_block_reduceILj1024EllddEEvT0_PKT1_PKT3_PT2_l16rocsparse_order_
    .private_segment_fixed_size: 0
    .sgpr_count:     46
    .sgpr_spill_count: 0
    .symbol:         _ZN9rocsparseL28csrmmnn_general_block_reduceILj1024EllddEEvT0_PKT1_PKT3_PT2_l16rocsparse_order_.kd
    .uniform_work_group_size: 1
    .uses_dynamic_stack: false
    .vgpr_count:     36
    .vgpr_spill_count: 0
    .wavefront_size: 64
  - .agpr_count:     0
    .args:
      - .offset:         0
        .size:           4
        .value_kind:     by_value
      - .actual_access:  read_only
        .address_space:  global
        .offset:         8
        .size:           8
        .value_kind:     global_buffer
      - .actual_access:  read_only
        .address_space:  global
        .offset:         16
        .size:           8
        .value_kind:     global_buffer
      - .address_space:  global
        .offset:         24
        .size:           8
        .value_kind:     global_buffer
      - .offset:         32
        .size:           8
        .value_kind:     by_value
      - .offset:         40
        .size:           4
        .value_kind:     by_value
    .group_segment_fixed_size: 12288
    .kernarg_segment_align: 8
    .kernarg_segment_size: 44
    .language:       OpenCL C
    .language_version:
      - 2
      - 0
    .max_flat_workgroup_size: 1024
    .name:           _ZN9rocsparseL28csrmmnn_general_block_reduceILj1024Eii21rocsparse_complex_numIfES2_EEvT0_PKT1_PKT3_PT2_l16rocsparse_order_
    .private_segment_fixed_size: 0
    .sgpr_count:     47
    .sgpr_spill_count: 0
    .symbol:         _ZN9rocsparseL28csrmmnn_general_block_reduceILj1024Eii21rocsparse_complex_numIfES2_EEvT0_PKT1_PKT3_PT2_l16rocsparse_order_.kd
    .uniform_work_group_size: 1
    .uses_dynamic_stack: false
    .vgpr_count:     34
    .vgpr_spill_count: 0
    .wavefront_size: 64
  - .agpr_count:     0
    .args:
      - .offset:         0
        .size:           8
        .value_kind:     by_value
      - .actual_access:  read_only
        .address_space:  global
        .offset:         8
        .size:           8
        .value_kind:     global_buffer
      - .actual_access:  read_only
        .address_space:  global
        .offset:         16
        .size:           8
        .value_kind:     global_buffer
      - .address_space:  global
        .offset:         24
        .size:           8
        .value_kind:     global_buffer
      - .offset:         32
        .size:           8
        .value_kind:     by_value
      - .offset:         40
        .size:           4
        .value_kind:     by_value
    .group_segment_fixed_size: 16384
    .kernarg_segment_align: 8
    .kernarg_segment_size: 44
    .language:       OpenCL C
    .language_version:
      - 2
      - 0
    .max_flat_workgroup_size: 1024
    .name:           _ZN9rocsparseL28csrmmnn_general_block_reduceILj1024Eli21rocsparse_complex_numIfES2_EEvT0_PKT1_PKT3_PT2_l16rocsparse_order_
    .private_segment_fixed_size: 0
    .sgpr_count:     46
    .sgpr_spill_count: 0
    .symbol:         _ZN9rocsparseL28csrmmnn_general_block_reduceILj1024Eli21rocsparse_complex_numIfES2_EEvT0_PKT1_PKT3_PT2_l16rocsparse_order_.kd
    .uniform_work_group_size: 1
    .uses_dynamic_stack: false
    .vgpr_count:     36
    .vgpr_spill_count: 0
    .wavefront_size: 64
  - .agpr_count:     0
    .args:
      - .offset:         0
        .size:           8
        .value_kind:     by_value
      - .actual_access:  read_only
        .address_space:  global
        .offset:         8
        .size:           8
        .value_kind:     global_buffer
      - .actual_access:  read_only
        .address_space:  global
        .offset:         16
        .size:           8
        .value_kind:     global_buffer
      - .address_space:  global
        .offset:         24
        .size:           8
        .value_kind:     global_buffer
      - .offset:         32
        .size:           8
        .value_kind:     by_value
      - .offset:         40
        .size:           4
        .value_kind:     by_value
    .group_segment_fixed_size: 16384
    .kernarg_segment_align: 8
    .kernarg_segment_size: 44
    .language:       OpenCL C
    .language_version:
      - 2
      - 0
    .max_flat_workgroup_size: 1024
    .name:           _ZN9rocsparseL28csrmmnn_general_block_reduceILj1024Ell21rocsparse_complex_numIfES2_EEvT0_PKT1_PKT3_PT2_l16rocsparse_order_
    .private_segment_fixed_size: 0
    .sgpr_count:     46
    .sgpr_spill_count: 0
    .symbol:         _ZN9rocsparseL28csrmmnn_general_block_reduceILj1024Ell21rocsparse_complex_numIfES2_EEvT0_PKT1_PKT3_PT2_l16rocsparse_order_.kd
    .uniform_work_group_size: 1
    .uses_dynamic_stack: false
    .vgpr_count:     36
    .vgpr_spill_count: 0
    .wavefront_size: 64
  - .agpr_count:     0
    .args:
      - .offset:         0
        .size:           4
        .value_kind:     by_value
      - .actual_access:  read_only
        .address_space:  global
        .offset:         8
        .size:           8
        .value_kind:     global_buffer
      - .actual_access:  read_only
        .address_space:  global
        .offset:         16
        .size:           8
        .value_kind:     global_buffer
      - .address_space:  global
        .offset:         24
        .size:           8
        .value_kind:     global_buffer
      - .offset:         32
        .size:           8
        .value_kind:     by_value
      - .offset:         40
        .size:           4
        .value_kind:     by_value
    .group_segment_fixed_size: 20480
    .kernarg_segment_align: 8
    .kernarg_segment_size: 44
    .language:       OpenCL C
    .language_version:
      - 2
      - 0
    .max_flat_workgroup_size: 1024
    .name:           _ZN9rocsparseL28csrmmnn_general_block_reduceILj1024Eii21rocsparse_complex_numIdES2_EEvT0_PKT1_PKT3_PT2_l16rocsparse_order_
    .private_segment_fixed_size: 0
    .sgpr_count:     47
    .sgpr_spill_count: 0
    .symbol:         _ZN9rocsparseL28csrmmnn_general_block_reduceILj1024Eii21rocsparse_complex_numIdES2_EEvT0_PKT1_PKT3_PT2_l16rocsparse_order_.kd
    .uniform_work_group_size: 1
    .uses_dynamic_stack: false
    .vgpr_count:     40
    .vgpr_spill_count: 0
    .wavefront_size: 64
  - .agpr_count:     0
    .args:
      - .offset:         0
        .size:           8
        .value_kind:     by_value
      - .actual_access:  read_only
        .address_space:  global
        .offset:         8
        .size:           8
        .value_kind:     global_buffer
      - .actual_access:  read_only
        .address_space:  global
        .offset:         16
        .size:           8
        .value_kind:     global_buffer
      - .address_space:  global
        .offset:         24
        .size:           8
        .value_kind:     global_buffer
      - .offset:         32
        .size:           8
        .value_kind:     by_value
      - .offset:         40
        .size:           4
        .value_kind:     by_value
    .group_segment_fixed_size: 24576
    .kernarg_segment_align: 8
    .kernarg_segment_size: 44
    .language:       OpenCL C
    .language_version:
      - 2
      - 0
    .max_flat_workgroup_size: 1024
    .name:           _ZN9rocsparseL28csrmmnn_general_block_reduceILj1024Eli21rocsparse_complex_numIdES2_EEvT0_PKT1_PKT3_PT2_l16rocsparse_order_
    .private_segment_fixed_size: 0
    .sgpr_count:     46
    .sgpr_spill_count: 0
    .symbol:         _ZN9rocsparseL28csrmmnn_general_block_reduceILj1024Eli21rocsparse_complex_numIdES2_EEvT0_PKT1_PKT3_PT2_l16rocsparse_order_.kd
    .uniform_work_group_size: 1
    .uses_dynamic_stack: false
    .vgpr_count:     40
    .vgpr_spill_count: 0
    .wavefront_size: 64
  - .agpr_count:     0
    .args:
      - .offset:         0
        .size:           8
        .value_kind:     by_value
      - .actual_access:  read_only
        .address_space:  global
        .offset:         8
        .size:           8
        .value_kind:     global_buffer
      - .actual_access:  read_only
        .address_space:  global
        .offset:         16
        .size:           8
        .value_kind:     global_buffer
      - .address_space:  global
        .offset:         24
        .size:           8
        .value_kind:     global_buffer
      - .offset:         32
        .size:           8
        .value_kind:     by_value
      - .offset:         40
        .size:           4
        .value_kind:     by_value
    .group_segment_fixed_size: 24576
    .kernarg_segment_align: 8
    .kernarg_segment_size: 44
    .language:       OpenCL C
    .language_version:
      - 2
      - 0
    .max_flat_workgroup_size: 1024
    .name:           _ZN9rocsparseL28csrmmnn_general_block_reduceILj1024Ell21rocsparse_complex_numIdES2_EEvT0_PKT1_PKT3_PT2_l16rocsparse_order_
    .private_segment_fixed_size: 0
    .sgpr_count:     46
    .sgpr_spill_count: 0
    .symbol:         _ZN9rocsparseL28csrmmnn_general_block_reduceILj1024Ell21rocsparse_complex_numIdES2_EEvT0_PKT1_PKT3_PT2_l16rocsparse_order_.kd
    .uniform_work_group_size: 1
    .uses_dynamic_stack: false
    .vgpr_count:     40
    .vgpr_spill_count: 0
    .wavefront_size: 64
  - .agpr_count:     0
    .args:
      - .offset:         0
        .size:           4
        .value_kind:     by_value
      - .actual_access:  read_only
        .address_space:  global
        .offset:         8
        .size:           8
        .value_kind:     global_buffer
      - .actual_access:  read_only
        .address_space:  global
        .offset:         16
        .size:           8
        .value_kind:     global_buffer
      - .address_space:  global
        .offset:         24
        .size:           8
        .value_kind:     global_buffer
      - .offset:         32
        .size:           8
        .value_kind:     by_value
      - .offset:         40
        .size:           4
        .value_kind:     by_value
    .group_segment_fixed_size: 8192
    .kernarg_segment_align: 8
    .kernarg_segment_size: 44
    .language:       OpenCL C
    .language_version:
      - 2
      - 0
    .max_flat_workgroup_size: 1024
    .name:           _ZN9rocsparseL28csrmmnn_general_block_reduceILj1024EiiiiEEvT0_PKT1_PKT3_PT2_l16rocsparse_order_
    .private_segment_fixed_size: 0
    .sgpr_count:     47
    .sgpr_spill_count: 0
    .symbol:         _ZN9rocsparseL28csrmmnn_general_block_reduceILj1024EiiiiEEvT0_PKT1_PKT3_PT2_l16rocsparse_order_.kd
    .uniform_work_group_size: 1
    .uses_dynamic_stack: false
    .vgpr_count:     32
    .vgpr_spill_count: 0
    .wavefront_size: 64
  - .agpr_count:     0
    .args:
      - .offset:         0
        .size:           8
        .value_kind:     by_value
      - .actual_access:  read_only
        .address_space:  global
        .offset:         8
        .size:           8
        .value_kind:     global_buffer
      - .actual_access:  read_only
        .address_space:  global
        .offset:         16
        .size:           8
        .value_kind:     global_buffer
      - .address_space:  global
        .offset:         24
        .size:           8
        .value_kind:     global_buffer
      - .offset:         32
        .size:           8
        .value_kind:     by_value
      - .offset:         40
        .size:           4
        .value_kind:     by_value
    .group_segment_fixed_size: 12288
    .kernarg_segment_align: 8
    .kernarg_segment_size: 44
    .language:       OpenCL C
    .language_version:
      - 2
      - 0
    .max_flat_workgroup_size: 1024
    .name:           _ZN9rocsparseL28csrmmnn_general_block_reduceILj1024EliiiEEvT0_PKT1_PKT3_PT2_l16rocsparse_order_
    .private_segment_fixed_size: 0
    .sgpr_count:     46
    .sgpr_spill_count: 0
    .symbol:         _ZN9rocsparseL28csrmmnn_general_block_reduceILj1024EliiiEEvT0_PKT1_PKT3_PT2_l16rocsparse_order_.kd
    .uniform_work_group_size: 1
    .uses_dynamic_stack: false
    .vgpr_count:     36
    .vgpr_spill_count: 0
    .wavefront_size: 64
  - .agpr_count:     0
    .args:
      - .offset:         0
        .size:           8
        .value_kind:     by_value
      - .actual_access:  read_only
        .address_space:  global
        .offset:         8
        .size:           8
        .value_kind:     global_buffer
      - .actual_access:  read_only
        .address_space:  global
        .offset:         16
        .size:           8
        .value_kind:     global_buffer
      - .address_space:  global
        .offset:         24
        .size:           8
        .value_kind:     global_buffer
      - .offset:         32
        .size:           8
        .value_kind:     by_value
      - .offset:         40
        .size:           4
        .value_kind:     by_value
    .group_segment_fixed_size: 12288
    .kernarg_segment_align: 8
    .kernarg_segment_size: 44
    .language:       OpenCL C
    .language_version:
      - 2
      - 0
    .max_flat_workgroup_size: 1024
    .name:           _ZN9rocsparseL28csrmmnn_general_block_reduceILj1024ElliiEEvT0_PKT1_PKT3_PT2_l16rocsparse_order_
    .private_segment_fixed_size: 0
    .sgpr_count:     46
    .sgpr_spill_count: 0
    .symbol:         _ZN9rocsparseL28csrmmnn_general_block_reduceILj1024ElliiEEvT0_PKT1_PKT3_PT2_l16rocsparse_order_.kd
    .uniform_work_group_size: 1
    .uses_dynamic_stack: false
    .vgpr_count:     36
    .vgpr_spill_count: 0
    .wavefront_size: 64
amdhsa.target:   amdgcn-amd-amdhsa--gfx90a
amdhsa.version:
  - 1
  - 2
...

	.end_amdgpu_metadata
